;; amdgpu-corpus repo=ROCm/rocFFT kind=compiled arch=gfx1201 opt=O3
	.text
	.amdgcn_target "amdgcn-amd-amdhsa--gfx1201"
	.amdhsa_code_object_version 6
	.protected	fft_rtc_back_len1452_factors_11_3_11_4_wgs_132_tpt_132_halfLds_dp_op_CI_CI_unitstride_sbrr_R2C_dirReg ; -- Begin function fft_rtc_back_len1452_factors_11_3_11_4_wgs_132_tpt_132_halfLds_dp_op_CI_CI_unitstride_sbrr_R2C_dirReg
	.globl	fft_rtc_back_len1452_factors_11_3_11_4_wgs_132_tpt_132_halfLds_dp_op_CI_CI_unitstride_sbrr_R2C_dirReg
	.p2align	8
	.type	fft_rtc_back_len1452_factors_11_3_11_4_wgs_132_tpt_132_halfLds_dp_op_CI_CI_unitstride_sbrr_R2C_dirReg,@function
fft_rtc_back_len1452_factors_11_3_11_4_wgs_132_tpt_132_halfLds_dp_op_CI_CI_unitstride_sbrr_R2C_dirReg: ; @fft_rtc_back_len1452_factors_11_3_11_4_wgs_132_tpt_132_halfLds_dp_op_CI_CI_unitstride_sbrr_R2C_dirReg
; %bb.0:
	s_clause 0x2
	s_load_b128 s[8:11], s[0:1], 0x0
	s_load_b128 s[4:7], s[0:1], 0x58
	;; [unrolled: 1-line block ×3, first 2 shown]
	v_mul_u32_u24_e32 v1, 0x1f1, v0
	v_mov_b32_e32 v3, 0
	s_delay_alu instid0(VALU_DEP_2) | instskip(NEXT) | instid1(VALU_DEP_1)
	v_lshrrev_b32_e32 v1, 16, v1
	v_add_nc_u32_e32 v5, ttmp9, v1
	v_mov_b32_e32 v1, 0
	v_mov_b32_e32 v2, 0
	;; [unrolled: 1-line block ×3, first 2 shown]
	s_wait_kmcnt 0x0
	v_cmp_lt_u64_e64 s2, s[10:11], 2
	s_delay_alu instid0(VALU_DEP_1)
	s_and_b32 vcc_lo, exec_lo, s2
	s_cbranch_vccnz .LBB0_8
; %bb.1:
	s_load_b64 s[2:3], s[0:1], 0x10
	v_mov_b32_e32 v1, 0
	v_mov_b32_e32 v2, 0
	s_add_nc_u64 s[16:17], s[14:15], 8
	s_add_nc_u64 s[18:19], s[12:13], 8
	s_mov_b64 s[20:21], 1
	s_delay_alu instid0(VALU_DEP_1)
	v_dual_mov_b32 v49, v2 :: v_dual_mov_b32 v48, v1
	s_wait_kmcnt 0x0
	s_add_nc_u64 s[22:23], s[2:3], 8
	s_mov_b32 s3, 0
.LBB0_2:                                ; =>This Inner Loop Header: Depth=1
	s_load_b64 s[24:25], s[22:23], 0x0
                                        ; implicit-def: $vgpr52_vgpr53
	s_mov_b32 s2, exec_lo
	s_wait_kmcnt 0x0
	v_or_b32_e32 v4, s25, v6
	s_delay_alu instid0(VALU_DEP_1)
	v_cmpx_ne_u64_e32 0, v[3:4]
	s_wait_alu 0xfffe
	s_xor_b32 s26, exec_lo, s2
	s_cbranch_execz .LBB0_4
; %bb.3:                                ;   in Loop: Header=BB0_2 Depth=1
	s_cvt_f32_u32 s2, s24
	s_cvt_f32_u32 s27, s25
	s_sub_nc_u64 s[30:31], 0, s[24:25]
	s_wait_alu 0xfffe
	s_delay_alu instid0(SALU_CYCLE_1) | instskip(SKIP_1) | instid1(SALU_CYCLE_2)
	s_fmamk_f32 s2, s27, 0x4f800000, s2
	s_wait_alu 0xfffe
	v_s_rcp_f32 s2, s2
	s_delay_alu instid0(TRANS32_DEP_1) | instskip(SKIP_1) | instid1(SALU_CYCLE_2)
	s_mul_f32 s2, s2, 0x5f7ffffc
	s_wait_alu 0xfffe
	s_mul_f32 s27, s2, 0x2f800000
	s_wait_alu 0xfffe
	s_delay_alu instid0(SALU_CYCLE_2) | instskip(SKIP_1) | instid1(SALU_CYCLE_2)
	s_trunc_f32 s27, s27
	s_wait_alu 0xfffe
	s_fmamk_f32 s2, s27, 0xcf800000, s2
	s_cvt_u32_f32 s29, s27
	s_wait_alu 0xfffe
	s_delay_alu instid0(SALU_CYCLE_1) | instskip(SKIP_1) | instid1(SALU_CYCLE_2)
	s_cvt_u32_f32 s28, s2
	s_wait_alu 0xfffe
	s_mul_u64 s[34:35], s[30:31], s[28:29]
	s_wait_alu 0xfffe
	s_mul_hi_u32 s37, s28, s35
	s_mul_i32 s36, s28, s35
	s_mul_hi_u32 s2, s28, s34
	s_mul_i32 s33, s29, s34
	s_wait_alu 0xfffe
	s_add_nc_u64 s[36:37], s[2:3], s[36:37]
	s_mul_hi_u32 s27, s29, s34
	s_mul_hi_u32 s38, s29, s35
	s_add_co_u32 s2, s36, s33
	s_wait_alu 0xfffe
	s_add_co_ci_u32 s2, s37, s27
	s_mul_i32 s34, s29, s35
	s_add_co_ci_u32 s35, s38, 0
	s_wait_alu 0xfffe
	s_add_nc_u64 s[34:35], s[2:3], s[34:35]
	s_wait_alu 0xfffe
	v_add_co_u32 v4, s2, s28, s34
	s_delay_alu instid0(VALU_DEP_1) | instskip(SKIP_1) | instid1(VALU_DEP_1)
	s_cmp_lg_u32 s2, 0
	s_add_co_ci_u32 s29, s29, s35
	v_readfirstlane_b32 s28, v4
	s_wait_alu 0xfffe
	s_delay_alu instid0(VALU_DEP_1)
	s_mul_u64 s[30:31], s[30:31], s[28:29]
	s_wait_alu 0xfffe
	s_mul_hi_u32 s35, s28, s31
	s_mul_i32 s34, s28, s31
	s_mul_hi_u32 s2, s28, s30
	s_mul_i32 s33, s29, s30
	s_wait_alu 0xfffe
	s_add_nc_u64 s[34:35], s[2:3], s[34:35]
	s_mul_hi_u32 s27, s29, s30
	s_mul_hi_u32 s28, s29, s31
	s_wait_alu 0xfffe
	s_add_co_u32 s2, s34, s33
	s_add_co_ci_u32 s2, s35, s27
	s_mul_i32 s30, s29, s31
	s_add_co_ci_u32 s31, s28, 0
	s_wait_alu 0xfffe
	s_add_nc_u64 s[30:31], s[2:3], s[30:31]
	s_wait_alu 0xfffe
	v_add_co_u32 v4, s2, v4, s30
	s_delay_alu instid0(VALU_DEP_1) | instskip(SKIP_1) | instid1(VALU_DEP_1)
	s_cmp_lg_u32 s2, 0
	s_add_co_ci_u32 s2, s29, s31
	v_mul_hi_u32 v13, v5, v4
	s_wait_alu 0xfffe
	v_mad_co_u64_u32 v[7:8], null, v5, s2, 0
	v_mad_co_u64_u32 v[9:10], null, v6, v4, 0
	;; [unrolled: 1-line block ×3, first 2 shown]
	s_delay_alu instid0(VALU_DEP_3) | instskip(SKIP_1) | instid1(VALU_DEP_4)
	v_add_co_u32 v4, vcc_lo, v13, v7
	s_wait_alu 0xfffd
	v_add_co_ci_u32_e32 v7, vcc_lo, 0, v8, vcc_lo
	s_delay_alu instid0(VALU_DEP_2) | instskip(SKIP_1) | instid1(VALU_DEP_2)
	v_add_co_u32 v4, vcc_lo, v4, v9
	s_wait_alu 0xfffd
	v_add_co_ci_u32_e32 v4, vcc_lo, v7, v10, vcc_lo
	s_wait_alu 0xfffd
	v_add_co_ci_u32_e32 v7, vcc_lo, 0, v12, vcc_lo
	s_delay_alu instid0(VALU_DEP_2) | instskip(SKIP_1) | instid1(VALU_DEP_2)
	v_add_co_u32 v4, vcc_lo, v4, v11
	s_wait_alu 0xfffd
	v_add_co_ci_u32_e32 v9, vcc_lo, 0, v7, vcc_lo
	s_delay_alu instid0(VALU_DEP_2) | instskip(SKIP_1) | instid1(VALU_DEP_3)
	v_mul_lo_u32 v10, s25, v4
	v_mad_co_u64_u32 v[7:8], null, s24, v4, 0
	v_mul_lo_u32 v11, s24, v9
	s_delay_alu instid0(VALU_DEP_2) | instskip(NEXT) | instid1(VALU_DEP_2)
	v_sub_co_u32 v7, vcc_lo, v5, v7
	v_add3_u32 v8, v8, v11, v10
	s_delay_alu instid0(VALU_DEP_1) | instskip(SKIP_1) | instid1(VALU_DEP_1)
	v_sub_nc_u32_e32 v10, v6, v8
	s_wait_alu 0xfffd
	v_subrev_co_ci_u32_e64 v10, s2, s25, v10, vcc_lo
	v_add_co_u32 v11, s2, v4, 2
	s_wait_alu 0xf1ff
	v_add_co_ci_u32_e64 v12, s2, 0, v9, s2
	v_sub_co_u32 v13, s2, v7, s24
	v_sub_co_ci_u32_e32 v8, vcc_lo, v6, v8, vcc_lo
	s_wait_alu 0xf1ff
	v_subrev_co_ci_u32_e64 v10, s2, 0, v10, s2
	s_delay_alu instid0(VALU_DEP_3) | instskip(NEXT) | instid1(VALU_DEP_3)
	v_cmp_le_u32_e32 vcc_lo, s24, v13
	v_cmp_eq_u32_e64 s2, s25, v8
	s_wait_alu 0xfffd
	v_cndmask_b32_e64 v13, 0, -1, vcc_lo
	v_cmp_le_u32_e32 vcc_lo, s25, v10
	s_wait_alu 0xfffd
	v_cndmask_b32_e64 v14, 0, -1, vcc_lo
	v_cmp_le_u32_e32 vcc_lo, s24, v7
	;; [unrolled: 3-line block ×3, first 2 shown]
	s_wait_alu 0xfffd
	v_cndmask_b32_e64 v15, 0, -1, vcc_lo
	v_cmp_eq_u32_e32 vcc_lo, s25, v10
	s_wait_alu 0xf1ff
	s_delay_alu instid0(VALU_DEP_2)
	v_cndmask_b32_e64 v7, v15, v7, s2
	s_wait_alu 0xfffd
	v_cndmask_b32_e32 v10, v14, v13, vcc_lo
	v_add_co_u32 v13, vcc_lo, v4, 1
	s_wait_alu 0xfffd
	v_add_co_ci_u32_e32 v14, vcc_lo, 0, v9, vcc_lo
	s_delay_alu instid0(VALU_DEP_3) | instskip(SKIP_1) | instid1(VALU_DEP_2)
	v_cmp_ne_u32_e32 vcc_lo, 0, v10
	s_wait_alu 0xfffd
	v_cndmask_b32_e32 v8, v14, v12, vcc_lo
	v_cndmask_b32_e32 v10, v13, v11, vcc_lo
	v_cmp_ne_u32_e32 vcc_lo, 0, v7
	s_wait_alu 0xfffd
	s_delay_alu instid0(VALU_DEP_2)
	v_dual_cndmask_b32 v53, v9, v8 :: v_dual_cndmask_b32 v52, v4, v10
.LBB0_4:                                ;   in Loop: Header=BB0_2 Depth=1
	s_wait_alu 0xfffe
	s_and_not1_saveexec_b32 s2, s26
	s_cbranch_execz .LBB0_6
; %bb.5:                                ;   in Loop: Header=BB0_2 Depth=1
	v_cvt_f32_u32_e32 v4, s24
	s_sub_co_i32 s26, 0, s24
	v_mov_b32_e32 v53, v3
	s_delay_alu instid0(VALU_DEP_2) | instskip(NEXT) | instid1(TRANS32_DEP_1)
	v_rcp_iflag_f32_e32 v4, v4
	v_mul_f32_e32 v4, 0x4f7ffffe, v4
	s_delay_alu instid0(VALU_DEP_1) | instskip(SKIP_1) | instid1(VALU_DEP_1)
	v_cvt_u32_f32_e32 v4, v4
	s_wait_alu 0xfffe
	v_mul_lo_u32 v7, s26, v4
	s_delay_alu instid0(VALU_DEP_1) | instskip(NEXT) | instid1(VALU_DEP_1)
	v_mul_hi_u32 v7, v4, v7
	v_add_nc_u32_e32 v4, v4, v7
	s_delay_alu instid0(VALU_DEP_1) | instskip(NEXT) | instid1(VALU_DEP_1)
	v_mul_hi_u32 v4, v5, v4
	v_mul_lo_u32 v7, v4, s24
	v_add_nc_u32_e32 v8, 1, v4
	s_delay_alu instid0(VALU_DEP_2) | instskip(NEXT) | instid1(VALU_DEP_1)
	v_sub_nc_u32_e32 v7, v5, v7
	v_subrev_nc_u32_e32 v9, s24, v7
	v_cmp_le_u32_e32 vcc_lo, s24, v7
	s_wait_alu 0xfffd
	s_delay_alu instid0(VALU_DEP_2) | instskip(NEXT) | instid1(VALU_DEP_1)
	v_dual_cndmask_b32 v7, v7, v9 :: v_dual_cndmask_b32 v4, v4, v8
	v_cmp_le_u32_e32 vcc_lo, s24, v7
	s_delay_alu instid0(VALU_DEP_2) | instskip(SKIP_1) | instid1(VALU_DEP_1)
	v_add_nc_u32_e32 v8, 1, v4
	s_wait_alu 0xfffd
	v_cndmask_b32_e32 v52, v4, v8, vcc_lo
.LBB0_6:                                ;   in Loop: Header=BB0_2 Depth=1
	s_wait_alu 0xfffe
	s_or_b32 exec_lo, exec_lo, s2
	v_mul_lo_u32 v4, v53, s24
	s_delay_alu instid0(VALU_DEP_2)
	v_mul_lo_u32 v9, v52, s25
	s_load_b64 s[26:27], s[18:19], 0x0
	v_mad_co_u64_u32 v[7:8], null, v52, s24, 0
	s_load_b64 s[24:25], s[16:17], 0x0
	s_add_nc_u64 s[20:21], s[20:21], 1
	s_add_nc_u64 s[16:17], s[16:17], 8
	s_wait_alu 0xfffe
	v_cmp_ge_u64_e64 s2, s[20:21], s[10:11]
	s_add_nc_u64 s[18:19], s[18:19], 8
	s_add_nc_u64 s[22:23], s[22:23], 8
	v_add3_u32 v4, v8, v9, v4
	v_sub_co_u32 v5, vcc_lo, v5, v7
	s_wait_alu 0xfffd
	s_delay_alu instid0(VALU_DEP_2) | instskip(SKIP_2) | instid1(VALU_DEP_1)
	v_sub_co_ci_u32_e32 v4, vcc_lo, v6, v4, vcc_lo
	s_and_b32 vcc_lo, exec_lo, s2
	s_wait_kmcnt 0x0
	v_mul_lo_u32 v6, s26, v4
	v_mul_lo_u32 v7, s27, v5
	v_mad_co_u64_u32 v[1:2], null, s26, v5, v[1:2]
	v_mul_lo_u32 v4, s24, v4
	v_mul_lo_u32 v8, s25, v5
	v_mad_co_u64_u32 v[48:49], null, s24, v5, v[48:49]
	s_delay_alu instid0(VALU_DEP_4) | instskip(NEXT) | instid1(VALU_DEP_2)
	v_add3_u32 v2, v7, v2, v6
	v_add3_u32 v49, v8, v49, v4
	s_wait_alu 0xfffe
	s_cbranch_vccnz .LBB0_9
; %bb.7:                                ;   in Loop: Header=BB0_2 Depth=1
	v_dual_mov_b32 v5, v52 :: v_dual_mov_b32 v6, v53
	s_branch .LBB0_2
.LBB0_8:
	v_dual_mov_b32 v49, v2 :: v_dual_mov_b32 v48, v1
	v_dual_mov_b32 v53, v6 :: v_dual_mov_b32 v52, v5
.LBB0_9:
	s_load_b64 s[0:1], s[0:1], 0x28
	v_mul_hi_u32 v3, 0x1f07c20, v0
	s_lshl_b64 s[10:11], s[10:11], 3
                                        ; implicit-def: $vgpr50
                                        ; implicit-def: $vgpr54
                                        ; implicit-def: $vgpr57
                                        ; implicit-def: $vgpr56
	s_wait_kmcnt 0x0
	v_cmp_gt_u64_e32 vcc_lo, s[0:1], v[52:53]
	v_cmp_le_u64_e64 s0, s[0:1], v[52:53]
	s_delay_alu instid0(VALU_DEP_1)
	s_and_saveexec_b32 s1, s0
	s_wait_alu 0xfffe
	s_xor_b32 s0, exec_lo, s1
; %bb.10:
	v_mul_u32_u24_e32 v1, 0x84, v3
                                        ; implicit-def: $vgpr3
	s_delay_alu instid0(VALU_DEP_1) | instskip(NEXT) | instid1(VALU_DEP_1)
	v_sub_nc_u32_e32 v50, v0, v1
                                        ; implicit-def: $vgpr0
                                        ; implicit-def: $vgpr1_vgpr2
	v_add_nc_u32_e32 v54, 0x84, v50
	v_add_nc_u32_e32 v57, 0x108, v50
	;; [unrolled: 1-line block ×3, first 2 shown]
; %bb.11:
	s_wait_alu 0xfffe
	s_or_saveexec_b32 s1, s0
	s_add_nc_u64 s[2:3], s[14:15], s[10:11]
	s_wait_alu 0xfffe
	s_xor_b32 exec_lo, exec_lo, s1
	s_cbranch_execz .LBB0_13
; %bb.12:
	s_add_nc_u64 s[10:11], s[12:13], s[10:11]
	v_lshlrev_b64_e32 v[1:2], 4, v[1:2]
	s_load_b64 s[10:11], s[10:11], 0x0
	s_wait_kmcnt 0x0
	v_mul_lo_u32 v6, s11, v52
	v_mul_lo_u32 v7, s10, v53
	v_mad_co_u64_u32 v[4:5], null, s10, v52, 0
	s_delay_alu instid0(VALU_DEP_1) | instskip(SKIP_1) | instid1(VALU_DEP_2)
	v_add3_u32 v5, v5, v7, v6
	v_mul_u32_u24_e32 v6, 0x84, v3
	v_lshlrev_b64_e32 v[3:4], 4, v[4:5]
	s_delay_alu instid0(VALU_DEP_2) | instskip(NEXT) | instid1(VALU_DEP_1)
	v_sub_nc_u32_e32 v50, v0, v6
	v_lshlrev_b32_e32 v44, 4, v50
	s_delay_alu instid0(VALU_DEP_3) | instskip(SKIP_1) | instid1(VALU_DEP_4)
	v_add_co_u32 v0, s0, s4, v3
	s_wait_alu 0xf1ff
	v_add_co_ci_u32_e64 v3, s0, s5, v4, s0
	v_add_nc_u32_e32 v54, 0x84, v50
	s_delay_alu instid0(VALU_DEP_3) | instskip(SKIP_1) | instid1(VALU_DEP_3)
	v_add_co_u32 v0, s0, v0, v1
	s_wait_alu 0xf1ff
	v_add_co_ci_u32_e64 v1, s0, v3, v2, s0
	v_add_nc_u32_e32 v57, 0x108, v50
	s_delay_alu instid0(VALU_DEP_3) | instskip(SKIP_1) | instid1(VALU_DEP_3)
	v_add_co_u32 v40, s0, v0, v44
	s_wait_alu 0xf1ff
	v_add_co_ci_u32_e64 v41, s0, 0, v1, s0
	s_clause 0xa
	global_load_b128 v[0:3], v[40:41], off
	global_load_b128 v[4:7], v[40:41], off offset:2112
	global_load_b128 v[8:11], v[40:41], off offset:4224
	;; [unrolled: 1-line block ×10, first 2 shown]
	v_add_nc_u32_e32 v44, 0, v44
	v_add_nc_u32_e32 v56, 0x18c, v50
	s_wait_loadcnt 0xa
	ds_store_b128 v44, v[0:3]
	s_wait_loadcnt 0x9
	ds_store_b128 v44, v[4:7] offset:2112
	s_wait_loadcnt 0x8
	ds_store_b128 v44, v[8:11] offset:4224
	;; [unrolled: 2-line block ×10, first 2 shown]
.LBB0_13:
	s_or_b32 exec_lo, exec_lo, s1
	v_lshl_add_u32 v60, v50, 4, 0
	s_load_b64 s[2:3], s[2:3], 0x0
	global_wb scope:SCOPE_SE
	s_wait_dscnt 0x0
	s_wait_kmcnt 0x0
	s_barrier_signal -1
	s_barrier_wait -1
	global_inv scope:SCOPE_SE
	ds_load_b128 v[4:7], v60
	ds_load_b128 v[8:11], v60 offset:2112
	ds_load_b128 v[0:3], v60 offset:21120
	;; [unrolled: 1-line block ×10, first 2 shown]
	s_mov_b32 s12, 0xf8bb580b
	s_mov_b32 s0, 0x8764f0ba
	s_mov_b32 s4, 0x8eee2c13
	s_mov_b32 s10, 0xd9c712b6
	s_mov_b32 s13, 0xbfe14ced
	s_mov_b32 s1, 0x3feaeb8c
	s_mov_b32 s5, 0xbfed1bb4
	s_mov_b32 s11, 0x3fda9628
	s_mov_b32 s14, 0x43842ef
	s_mov_b32 s20, 0x640f44db
	s_mov_b32 s15, 0xbfefac9e
	s_mov_b32 s21, 0xbfc2375f
	s_mov_b32 s16, 0xbb3a28a1
	s_mov_b32 s24, 0x7f775887
	s_mov_b32 s17, 0xbfe82f19
	s_mov_b32 s25, 0xbfe4f49e
	s_wait_dscnt 0x9
	v_add_f64_e32 v[44:45], v[4:5], v[8:9]
	v_add_f64_e32 v[46:47], v[6:7], v[10:11]
	s_wait_dscnt 0x5
	v_add_f64_e64 v[61:62], v[22:23], -v[18:19]
	v_add_f64_e32 v[63:64], v[22:23], v[18:19]
	v_add_f64_e64 v[58:59], v[10:11], -v[2:3]
	v_add_f64_e32 v[10:11], v[10:11], v[2:3]
	s_wait_dscnt 0x4
	v_add_f64_e32 v[85:86], v[24:25], v[12:13]
	v_add_f64_e64 v[87:88], v[24:25], -v[12:13]
	s_mov_b32 s36, 0xfd768dbf
	s_mov_b32 s26, 0x9bcd5057
	v_add_f64_e64 v[65:66], v[26:27], -v[14:15]
	s_wait_dscnt 0x0
	v_add_f64_e32 v[73:74], v[42:43], v[30:31]
	v_add_f64_e32 v[75:76], v[8:9], v[0:1]
	v_add_f64_e64 v[8:9], v[8:9], -v[0:1]
	s_mov_b32 s37, 0xbfd207e7
	s_mov_b32 s27, 0xbfeeb42a
	;; [unrolled: 1-line block ×7, first 2 shown]
	s_wait_alu 0xfffe
	s_mov_b32 s22, s4
	s_mov_b32 s34, s14
	;; [unrolled: 1-line block ×3, first 2 shown]
	v_add_f64_e64 v[67:68], v[38:39], -v[34:35]
	v_add_f64_e32 v[69:70], v[38:39], v[34:35]
	s_mov_b32 s31, 0x3fe82f19
	s_mov_b32 s30, s16
	v_add_f64_e32 v[81:82], v[36:37], v[32:33]
	v_add_f64_e64 v[83:84], v[36:37], -v[32:33]
	v_add_f64_e32 v[89:90], v[20:21], v[16:17]
	v_add_f64_e64 v[71:72], v[42:43], -v[30:31]
	;; [unrolled: 2-line block ×3, first 2 shown]
	global_wb scope:SCOPE_SE
	s_barrier_signal -1
	s_barrier_wait -1
	global_inv scope:SCOPE_SE
	v_add_f64_e32 v[44:45], v[44:45], v[20:21]
	v_add_f64_e32 v[22:23], v[46:47], v[22:23]
	;; [unrolled: 1-line block ×3, first 2 shown]
	v_add_f64_e64 v[20:21], v[20:21], -v[16:17]
	v_mul_f64_e32 v[91:92], s[12:13], v[58:59]
	v_mul_f64_e32 v[93:94], s[0:1], v[10:11]
	v_mul_f64_e32 v[95:96], s[4:5], v[58:59]
	v_mul_f64_e32 v[97:98], s[10:11], v[10:11]
	v_mul_f64_e32 v[99:100], s[14:15], v[58:59]
	v_mul_f64_e32 v[101:102], s[20:21], v[10:11]
	v_mul_f64_e32 v[103:104], s[16:17], v[58:59]
	v_mul_f64_e32 v[105:106], s[24:25], v[10:11]
	v_mul_f64_e32 v[58:59], s[36:37], v[58:59]
	v_mul_f64_e32 v[10:11], s[26:27], v[10:11]
	v_mul_f64_e32 v[107:108], s[4:5], v[61:62]
	v_mul_f64_e32 v[109:110], s[10:11], v[63:64]
	v_mul_f64_e32 v[111:112], s[14:15], v[65:66]
	v_mul_f64_e32 v[117:118], s[26:27], v[73:74]
	v_mul_f64_e32 v[119:120], s[16:17], v[61:62]
	v_mul_f64_e32 v[121:122], s[24:25], v[63:64]
	s_wait_alu 0xfffe
	v_mul_f64_e32 v[123:124], s[28:29], v[65:66]
	v_mul_f64_e32 v[133:134], s[0:1], v[73:74]
	v_mul_f64_e32 v[135:136], s[28:29], v[61:62]
	v_mul_f64_e32 v[137:138], s[34:35], v[61:62]
	v_mul_f64_e32 v[61:62], s[18:19], v[61:62]
	v_mul_f64_e32 v[139:140], s[26:27], v[63:64]
	v_mul_f64_e32 v[141:142], s[20:21], v[63:64]
	v_mul_f64_e32 v[63:64], s[0:1], v[63:64]
	v_mul_f64_e32 v[163:164], s[10:11], v[73:74]
	v_mul_f64_e32 v[165:166], s[20:21], v[73:74]
	v_mul_f64_e32 v[143:144], s[22:23], v[65:66]
	v_mul_f64_e32 v[145:146], s[12:13], v[65:66]
	v_mul_f64_e32 v[65:66], s[16:17], v[65:66]
	v_mul_f64_e32 v[113:114], s[24:25], v[69:70]
	v_mul_f64_e32 v[127:128], s[34:35], v[67:68]
	v_mul_f64_e32 v[129:130], s[20:21], v[69:70]
	v_mul_f64_e32 v[151:152], s[12:13], v[67:68]
	v_mul_f64_e32 v[153:154], s[36:37], v[67:68]
	v_add_f64_e32 v[24:25], v[44:45], v[24:25]
	v_add_f64_e32 v[22:23], v[22:23], v[26:27]
	v_mul_f64_e32 v[26:27], s[20:21], v[46:47]
	v_mul_f64_e32 v[125:126], s[26:27], v[46:47]
	;; [unrolled: 1-line block ×4, first 2 shown]
	v_fma_f64 v[167:168], v[75:76], s[10:11], v[95:96]
	v_fma_f64 v[169:170], v[8:9], s[22:23], v[97:98]
	v_fma_f64 v[95:96], v[75:76], s[10:11], -v[95:96]
	v_fma_f64 v[171:172], v[75:76], s[20:21], v[99:100]
	v_fma_f64 v[173:174], v[8:9], s[34:35], v[101:102]
	v_fma_f64 v[99:100], v[75:76], s[20:21], -v[99:100]
	v_fma_f64 v[175:176], v[75:76], s[24:25], v[103:104]
	v_fma_f64 v[177:178], v[8:9], s[30:31], v[105:106]
	v_fma_f64 v[103:104], v[75:76], s[24:25], -v[103:104]
	v_fma_f64 v[179:180], v[75:76], s[26:27], v[58:59]
	v_fma_f64 v[181:182], v[8:9], s[28:29], v[10:11]
	;; [unrolled: 1-line block ×5, first 2 shown]
	v_fma_f64 v[58:59], v[75:76], s[26:27], -v[58:59]
	v_fma_f64 v[183:184], v[85:86], s[20:21], -v[111:112]
	v_fma_f64 v[195:196], v[89:90], s[24:25], v[119:120]
	v_fma_f64 v[197:198], v[20:21], s[30:31], v[121:122]
	;; [unrolled: 1-line block ×4, first 2 shown]
	v_fma_f64 v[61:62], v[89:90], s[0:1], -v[61:62]
	v_fma_f64 v[209:210], v[20:21], s[14:15], v[141:142]
	v_fma_f64 v[141:142], v[20:21], s[34:35], v[141:142]
	;; [unrolled: 1-line block ×3, first 2 shown]
	v_mul_f64_e32 v[46:47], s[24:25], v[46:47]
	v_mul_f64_e32 v[44:45], s[16:17], v[67:68]
	;; [unrolled: 1-line block ×8, first 2 shown]
	v_add_f64_e32 v[24:25], v[24:25], v[36:37]
	v_add_f64_e32 v[22:23], v[22:23], v[38:39]
	v_mul_f64_e32 v[36:37], s[24:25], v[73:74]
	v_fma_f64 v[38:39], v[75:76], s[0:1], v[91:92]
	v_fma_f64 v[73:74], v[8:9], s[18:19], v[93:94]
	v_fma_f64 v[91:92], v[75:76], s[0:1], -v[91:92]
	v_fma_f64 v[93:94], v[8:9], s[12:13], v[93:94]
	v_fma_f64 v[8:9], v[8:9], s[36:37], v[10:11]
	v_fma_f64 v[10:11], v[89:90], s[10:11], -v[107:108]
	v_fma_f64 v[75:76], v[20:21], s[4:5], v[109:110]
	v_fma_f64 v[107:108], v[89:90], s[10:11], v[107:108]
	v_add_f64_e32 v[95:96], v[4:5], v[95:96]
	v_add_f64_e32 v[99:100], v[4:5], v[99:100]
	v_fma_f64 v[185:186], v[87:88], s[14:15], v[26:27]
	v_add_f64_e32 v[103:104], v[4:5], v[103:104]
	v_fma_f64 v[201:202], v[87:88], s[36:37], v[125:126]
	v_fma_f64 v[26:27], v[87:88], s[34:35], v[26:27]
	v_add_f64_e32 v[97:98], v[6:7], v[97:98]
	v_add_f64_e32 v[101:102], v[6:7], v[101:102]
	v_fma_f64 v[189:190], v[83:84], s[16:17], v[113:114]
	v_fma_f64 v[203:204], v[81:82], s[20:21], v[127:128]
	;; [unrolled: 1-line block ×3, first 2 shown]
	v_mul_f64_e32 v[159:160], s[16:17], v[71:72]
	v_mul_f64_e32 v[161:162], s[22:23], v[71:72]
	;; [unrolled: 1-line block ×3, first 2 shown]
	v_fma_f64 v[193:194], v[79:80], s[36:37], v[117:118]
	v_fma_f64 v[187:188], v[81:82], s[24:25], -v[44:45]
	v_fma_f64 v[191:192], v[77:78], s[26:27], -v[115:116]
	v_add_f64_e32 v[24:25], v[24:25], v[40:41]
	v_add_f64_e32 v[22:23], v[22:23], v[42:43]
	v_fma_f64 v[40:41], v[89:90], s[24:25], -v[119:120]
	v_fma_f64 v[42:43], v[89:90], s[26:27], v[135:136]
	v_fma_f64 v[119:120], v[89:90], s[26:27], -v[135:136]
	v_fma_f64 v[135:136], v[89:90], s[20:21], v[137:138]
	;; [unrolled: 2-line block ×3, first 2 shown]
	v_fma_f64 v[109:110], v[20:21], s[16:17], v[121:122]
	v_fma_f64 v[121:122], v[20:21], s[36:37], v[139:140]
	;; [unrolled: 1-line block ×5, first 2 shown]
	v_add_f64_e32 v[91:92], v[4:5], v[91:92]
	v_fma_f64 v[111:112], v[85:86], s[26:27], -v[123:124]
	v_add_f64_e32 v[93:94], v[6:7], v[93:94]
	v_add_f64_e32 v[123:124], v[4:5], v[167:168]
	;; [unrolled: 1-line block ×14, first 2 shown]
	v_fma_f64 v[73:74], v[85:86], s[0:1], v[145:146]
	v_fma_f64 v[105:106], v[85:86], s[0:1], -v[145:146]
	v_fma_f64 v[145:146], v[87:88], s[22:23], v[147:148]
	v_fma_f64 v[181:182], v[87:88], s[30:31], v[46:47]
	;; [unrolled: 1-line block ×3, first 2 shown]
	v_add_f64_e32 v[24:25], v[24:25], v[28:29]
	v_add_f64_e32 v[22:23], v[22:23], v[30:31]
	v_fma_f64 v[28:29], v[85:86], s[10:11], v[143:144]
	v_fma_f64 v[30:31], v[85:86], s[10:11], -v[143:144]
	v_fma_f64 v[143:144], v[85:86], s[24:25], v[65:66]
	v_fma_f64 v[65:66], v[85:86], s[24:25], -v[65:66]
	v_fma_f64 v[85:86], v[87:88], s[28:29], v[125:126]
	v_fma_f64 v[125:126], v[87:88], s[4:5], v[147:148]
	v_add_f64_e32 v[40:41], v[40:41], v[95:96]
	v_fma_f64 v[147:148], v[87:88], s[18:19], v[149:150]
	v_add_f64_e32 v[99:100], v[119:120], v[99:100]
	v_add_f64_e32 v[103:104], v[137:138], v[103:104]
	v_fma_f64 v[149:150], v[87:88], s[12:13], v[149:150]
	v_add_f64_e32 v[10:11], v[10:11], v[91:92]
	v_fma_f64 v[137:138], v[83:84], s[28:29], v[157:158]
	v_add_f64_e32 v[75:76], v[75:76], v[93:94]
	v_add_f64_e32 v[93:94], v[195:196], v[123:124]
	;; [unrolled: 1-line block ×16, first 2 shown]
	v_fma_f64 v[89:90], v[81:82], s[0:1], -v[151:152]
	v_fma_f64 v[97:98], v[81:82], s[26:27], v[153:154]
	v_fma_f64 v[101:102], v[81:82], s[26:27], -v[153:154]
	v_fma_f64 v[109:110], v[81:82], s[10:11], v[67:68]
	;; [unrolled: 2-line block ×3, first 2 shown]
	v_fma_f64 v[141:142], v[83:84], s[4:5], v[69:70]
	v_add_f64_e32 v[24:25], v[24:25], v[32:33]
	v_add_f64_e32 v[22:23], v[22:23], v[34:35]
	v_fma_f64 v[32:33], v[81:82], s[24:25], v[44:45]
	v_fma_f64 v[34:35], v[81:82], s[20:21], -v[127:128]
	v_fma_f64 v[44:45], v[81:82], s[0:1], v[151:152]
	v_fma_f64 v[81:82], v[83:84], s[30:31], v[113:114]
	;; [unrolled: 1-line block ×6, first 2 shown]
	v_add_f64_e32 v[40:41], v[111:112], v[40:41]
	v_add_f64_e32 v[30:31], v[30:31], v[99:100]
	v_fma_f64 v[87:88], v[77:78], s[0:1], v[131:132]
	v_add_f64_e32 v[10:11], v[183:184], v[10:11]
	v_fma_f64 v[91:92], v[79:80], s[12:13], v[133:134]
	v_add_f64_e32 v[75:76], v[185:186], v[75:76]
	v_add_f64_e32 v[83:84], v[199:200], v[93:94]
	;; [unrolled: 1-line block ×17, first 2 shown]
	v_fma_f64 v[119:120], v[79:80], s[30:31], v[36:37]
	v_fma_f64 v[121:122], v[79:80], s[16:17], v[36:37]
	;; [unrolled: 1-line block ×3, first 2 shown]
	v_fma_f64 v[61:62], v[77:78], s[24:25], -v[159:160]
	v_fma_f64 v[65:66], v[77:78], s[10:11], v[161:162]
	v_fma_f64 v[85:86], v[77:78], s[10:11], -v[161:162]
	v_add_f64_e32 v[12:13], v[24:25], v[12:13]
	v_add_f64_e32 v[14:15], v[22:23], v[14:15]
	v_fma_f64 v[22:23], v[77:78], s[26:27], v[115:116]
	v_fma_f64 v[24:25], v[77:78], s[0:1], -v[131:132]
	v_fma_f64 v[105:106], v[77:78], s[20:21], v[71:72]
	v_fma_f64 v[71:72], v[77:78], s[20:21], -v[71:72]
	v_fma_f64 v[77:78], v[79:80], s[4:5], v[163:164]
	v_fma_f64 v[111:112], v[79:80], s[34:35], v[165:166]
	;; [unrolled: 1-line block ×4, first 2 shown]
	v_add_f64_e32 v[34:35], v[34:35], v[40:41]
	v_add_f64_e32 v[30:31], v[89:90], v[30:31]
	v_fma_f64 v[123:124], v[79:80], s[18:19], v[133:134]
	v_add_f64_e32 v[10:11], v[187:188], v[10:11]
	v_fma_f64 v[79:80], v[79:80], s[28:29], v[117:118]
	v_add_f64_e32 v[36:37], v[189:190], v[75:76]
	v_add_f64_e32 v[75:76], v[203:204], v[83:84]
	;; [unrolled: 1-line block ×17, first 2 shown]
	v_cmp_gt_u32_e64 s0, 0x58, v50
	v_add_f64_e32 v[93:94], v[12:13], v[16:17]
	v_add_f64_e32 v[18:19], v[14:15], v[18:19]
	;; [unrolled: 1-line block ×4, first 2 shown]
	v_lshl_add_u32 v61, v57, 4, 0
	v_add_f64_e32 v[12:13], v[191:192], v[10:11]
	v_lshl_add_u32 v62, v56, 4, 0
	v_add_f64_e32 v[14:15], v[193:194], v[36:37]
	v_add_f64_e32 v[8:9], v[87:88], v[75:76]
	;; [unrolled: 1-line block ×16, first 2 shown]
	v_mad_u32_u24 v44, 0xa0, v50, v60
	v_lshl_add_u32 v63, v54, 4, 0
                                        ; implicit-def: $vgpr46_vgpr47
	v_add_f64_e32 v[0:1], v[93:94], v[0:1]
	v_add_f64_e32 v[2:3], v[18:19], v[2:3]
	;; [unrolled: 1-line block ×3, first 2 shown]
	ds_store_b128 v44, v[8:11] offset:32
	ds_store_b128 v44, v[20:23] offset:48
	;; [unrolled: 1-line block ×9, first 2 shown]
	ds_store_b128 v44, v[0:3]
	ds_store_b128 v44, v[16:19] offset:16
	global_wb scope:SCOPE_SE
	s_wait_dscnt 0x0
	s_barrier_signal -1
	s_barrier_wait -1
	global_inv scope:SCOPE_SE
	ds_load_b128 v[8:11], v60
	ds_load_b128 v[20:23], v60 offset:7744
	ds_load_b128 v[24:27], v60 offset:15488
	;; [unrolled: 1-line block ×3, first 2 shown]
	ds_load_b128 v[0:3], v61
	ds_load_b128 v[40:43], v60 offset:9856
	ds_load_b128 v[28:31], v60 offset:11968
	ds_load_b128 v[16:19], v63
	ds_load_b128 v[32:35], v60 offset:19712
	s_and_saveexec_b32 s1, s0
	s_cbranch_execz .LBB0_15
; %bb.14:
	ds_load_b128 v[4:7], v62
	ds_load_b128 v[12:15], v60 offset:14080
	ds_load_b128 v[44:47], v60 offset:21824
.LBB0_15:
	s_wait_alu 0xfffe
	s_or_b32 exec_lo, exec_lo, s1
	v_and_b32_e32 v51, 0xff, v50
	v_and_b32_e32 v59, 0xffff, v54
	;; [unrolled: 1-line block ×3, first 2 shown]
	s_mov_b32 s10, 0xe8584caa
	s_mov_b32 s11, 0xbfebb67a
	v_mul_lo_u16 v55, 0x75, v51
	v_mul_u32_u24_e32 v59, 0xba2f, v59
	v_mul_u32_u24_e32 v64, 0xba2f, v64
	s_mov_b32 s5, 0x3febb67a
	s_wait_alu 0xfffe
	s_mov_b32 s4, s10
	v_lshrrev_b16 v55, 8, v55
	v_lshrrev_b32_e32 v59, 19, v59
	v_lshrrev_b32_e32 v113, 19, v64
	s_delay_alu instid0(VALU_DEP_3) | instskip(NEXT) | instid1(VALU_DEP_1)
	v_sub_nc_u16 v58, v50, v55
	v_lshrrev_b16 v58, 1, v58
	s_delay_alu instid0(VALU_DEP_1) | instskip(NEXT) | instid1(VALU_DEP_1)
	v_and_b32_e32 v58, 0x7f, v58
	v_add_nc_u16 v55, v58, v55
	v_and_b32_e32 v58, 0xffff, v56
	s_delay_alu instid0(VALU_DEP_2) | instskip(SKIP_1) | instid1(VALU_DEP_3)
	v_lshrrev_b16 v112, 3, v55
	v_mul_lo_u16 v55, v59, 11
	v_mul_u32_u24_e32 v58, 0xba2f, v58
	v_mul_u32_u24_e32 v59, 0x210, v59
	s_delay_alu instid0(VALU_DEP_4) | instskip(NEXT) | instid1(VALU_DEP_4)
	v_mul_lo_u16 v64, v112, 11
	v_sub_nc_u16 v65, v54, v55
	s_delay_alu instid0(VALU_DEP_4) | instskip(SKIP_1) | instid1(VALU_DEP_4)
	v_lshrrev_b32_e32 v55, 19, v58
	v_mul_lo_u16 v58, v113, 11
	v_sub_nc_u16 v64, v50, v64
	s_delay_alu instid0(VALU_DEP_4) | instskip(NEXT) | instid1(VALU_DEP_4)
	v_and_b32_e32 v114, 0xffff, v65
	v_mul_lo_u16 v65, v55, 11
	s_delay_alu instid0(VALU_DEP_4) | instskip(NEXT) | instid1(VALU_DEP_4)
	v_sub_nc_u16 v58, v57, v58
	v_and_b32_e32 v115, 0xff, v64
	s_delay_alu instid0(VALU_DEP_4) | instskip(NEXT) | instid1(VALU_DEP_4)
	v_lshlrev_b32_e32 v68, 5, v114
	v_sub_nc_u16 v72, v56, v65
	s_delay_alu instid0(VALU_DEP_4)
	v_and_b32_e32 v116, 0xffff, v58
	s_clause 0x1
	global_load_b128 v[64:67], v68, s[8:9]
	global_load_b128 v[68:71], v68, s[8:9] offset:16
	v_and_b32_e32 v58, 0xffff, v72
	v_lshlrev_b32_e32 v76, 5, v115
	v_lshlrev_b32_e32 v84, 5, v116
	s_clause 0x1
	global_load_b128 v[72:75], v76, s[8:9]
	global_load_b128 v[76:79], v76, s[8:9] offset:16
	v_lshlrev_b32_e32 v92, 5, v58
	s_clause 0x3
	global_load_b128 v[80:83], v84, s[8:9]
	global_load_b128 v[84:87], v84, s[8:9] offset:16
	global_load_b128 v[88:91], v92, s[8:9]
	global_load_b128 v[92:95], v92, s[8:9] offset:16
	global_wb scope:SCOPE_SE
	s_wait_loadcnt_dscnt 0x0
	s_barrier_signal -1
	s_barrier_wait -1
	global_inv scope:SCOPE_SE
	v_mul_f64_e32 v[96:97], v[42:43], v[66:67]
	v_mul_f64_e32 v[66:67], v[40:41], v[66:67]
	;; [unrolled: 1-line block ×16, first 2 shown]
	v_fma_f64 v[40:41], v[40:41], v[64:65], v[96:97]
	v_fma_f64 v[42:43], v[42:43], v[64:65], -v[66:67]
	v_fma_f64 v[36:37], v[36:37], v[68:69], v[98:99]
	v_fma_f64 v[38:39], v[38:39], v[68:69], -v[70:71]
	v_fma_f64 v[64:65], v[20:21], v[72:73], v[100:101]
	v_fma_f64 v[66:67], v[24:25], v[76:77], v[102:103]
	v_fma_f64 v[24:25], v[22:23], v[72:73], -v[74:75]
	v_fma_f64 v[68:69], v[26:27], v[76:77], -v[78:79]
	v_fma_f64 v[26:27], v[28:29], v[80:81], v[104:105]
	v_fma_f64 v[28:29], v[30:31], v[80:81], -v[82:83]
	v_fma_f64 v[30:31], v[32:33], v[84:85], v[106:107]
	;; [unrolled: 2-line block ×4, first 2 shown]
	v_fma_f64 v[14:15], v[46:47], v[92:93], -v[94:95]
	v_add_f64_e32 v[80:81], v[16:17], v[40:41]
	v_add_f64_e32 v[34:35], v[40:41], v[36:37]
	;; [unrolled: 1-line block ×3, first 2 shown]
	v_add_f64_e64 v[82:83], v[42:43], -v[38:39]
	v_add_f64_e32 v[42:43], v[18:19], v[42:43]
	v_add_f64_e64 v[84:85], v[40:41], -v[36:37]
	v_add_f64_e32 v[88:89], v[8:9], v[64:65]
	v_add_f64_e32 v[46:47], v[64:65], v[66:67]
	;; [unrolled: 1-line block ×8, first 2 shown]
	v_add_f64_e64 v[94:95], v[24:25], -v[68:69]
	v_add_f64_e64 v[98:99], v[64:65], -v[66:67]
	v_add_f64_e32 v[76:77], v[20:21], v[12:13]
	v_add_f64_e32 v[78:79], v[22:23], v[14:15]
	v_add_f64_e64 v[100:101], v[28:29], -v[32:33]
	v_add_f64_e64 v[102:103], v[26:27], -v[30:31]
	v_add_f64_e32 v[24:25], v[80:81], v[36:37]
	v_lshlrev_b32_e32 v80, 4, v115
	v_fma_f64 v[92:93], v[34:35], -0.5, v[16:17]
	v_fma_f64 v[96:97], v[44:45], -0.5, v[18:19]
	v_add_f64_e64 v[18:19], v[20:21], -v[12:13]
	v_add_f64_e32 v[26:27], v[42:43], v[38:39]
	v_fma_f64 v[46:47], v[46:47], -0.5, v[8:9]
	v_add_f64_e32 v[34:35], v[90:91], v[68:69]
	v_fma_f64 v[70:71], v[70:71], -0.5, v[10:11]
	v_add_f64_e64 v[10:11], v[22:23], -v[14:15]
	v_add_f64_e32 v[28:29], v[40:41], v[30:31]
	v_fma_f64 v[0:1], v[72:73], -0.5, v[0:1]
	v_fma_f64 v[2:3], v[74:75], -0.5, v[2:3]
	v_add_f64_e32 v[30:31], v[86:87], v[32:33]
	v_add_f64_e32 v[32:33], v[88:89], v[66:67]
	v_fma_f64 v[8:9], v[76:77], -0.5, v[4:5]
	v_fma_f64 v[16:17], v[78:79], -0.5, v[6:7]
	v_and_b32_e32 v76, 0xffff, v112
	v_lshlrev_b32_e32 v78, 4, v114
	v_mul_u32_u24_e32 v77, 0x210, v113
	v_lshlrev_b32_e32 v79, 4, v116
	s_delay_alu instid0(VALU_DEP_4) | instskip(NEXT) | instid1(VALU_DEP_4)
	v_mul_u32_u24_e32 v76, 0x210, v76
	v_add3_u32 v59, 0, v59, v78
	s_delay_alu instid0(VALU_DEP_3) | instskip(NEXT) | instid1(VALU_DEP_3)
	v_add3_u32 v77, 0, v77, v79
	v_add3_u32 v76, 0, v76, v80
	v_fma_f64 v[36:37], v[82:83], s[10:11], v[92:93]
	s_wait_alu 0xfffe
	v_fma_f64 v[38:39], v[84:85], s[4:5], v[96:97]
	v_fma_f64 v[40:41], v[82:83], s[4:5], v[92:93]
	;; [unrolled: 1-line block ×13, first 2 shown]
	ds_store_b128 v76, v[32:35]
	ds_store_b128 v76, v[44:47] offset:176
	ds_store_b128 v76, v[64:67] offset:352
	ds_store_b128 v59, v[24:27]
	ds_store_b128 v59, v[36:39] offset:176
	ds_store_b128 v59, v[40:43] offset:352
	;; [unrolled: 3-line block ×3, first 2 shown]
	s_and_saveexec_b32 s1, s0
	s_cbranch_execz .LBB0_17
; %bb.16:
	v_add_f64_e32 v[22:23], v[6:7], v[22:23]
	v_add_f64_e32 v[4:5], v[4:5], v[20:21]
	v_mul_f64_e32 v[18:19], s[4:5], v[18:19]
	v_mul_f64_e32 v[10:11], s[4:5], v[10:11]
	s_delay_alu instid0(VALU_DEP_4) | instskip(NEXT) | instid1(VALU_DEP_4)
	v_add_f64_e32 v[14:15], v[22:23], v[14:15]
	v_add_f64_e32 v[12:13], v[4:5], v[12:13]
	s_delay_alu instid0(VALU_DEP_4) | instskip(NEXT) | instid1(VALU_DEP_4)
	v_add_f64_e32 v[6:7], v[18:19], v[16:17]
	v_add_f64_e64 v[4:5], v[8:9], -v[10:11]
	v_mul_lo_u16 v8, v55, 33
	v_lshlrev_b32_e32 v9, 4, v58
	s_delay_alu instid0(VALU_DEP_2) | instskip(NEXT) | instid1(VALU_DEP_1)
	v_and_b32_e32 v8, 0xffff, v8
	v_lshlrev_b32_e32 v8, 4, v8
	s_delay_alu instid0(VALU_DEP_1)
	v_add3_u32 v8, 0, v9, v8
	ds_store_b128 v8, v[12:15]
	ds_store_b128 v8, v[4:7] offset:176
	ds_store_b128 v8, v[0:3] offset:352
.LBB0_17:
	s_wait_alu 0xfffe
	s_or_b32 exec_lo, exec_lo, s1
	v_mul_lo_u16 v4, 0xf9, v51
	global_wb scope:SCOPE_SE
	s_wait_dscnt 0x0
	s_barrier_signal -1
	s_barrier_wait -1
	global_inv scope:SCOPE_SE
	v_lshrrev_b16 v51, 13, v4
	s_mov_b32 s4, 0xf8bb580b
	s_mov_b32 s10, 0x8764f0ba
	;; [unrolled: 1-line block ×4, first 2 shown]
	v_mul_lo_u16 v4, v51, 33
	s_mov_b32 s5, 0xbfe14ced
	s_mov_b32 s11, 0x3feaeb8c
	;; [unrolled: 1-line block ×4, first 2 shown]
	v_sub_nc_u16 v4, v50, v4
	s_mov_b32 s0, 0x43842ef
	s_mov_b32 s1, 0xbfefac9e
	;; [unrolled: 1-line block ×4, first 2 shown]
	v_and_b32_e32 v55, 0xff, v4
	s_mov_b32 s25, 0xbfe82f19
	s_mov_b32 s27, 0xbfe4f49e
	;; [unrolled: 1-line block ×4, first 2 shown]
	v_mul_u32_u24_e32 v4, 10, v55
	s_mov_b32 s31, 0xbfd207e7
	s_mov_b32 s35, 0xbfeeb42a
	;; [unrolled: 1-line block ×3, first 2 shown]
	s_wait_alu 0xfffe
	s_mov_b32 s18, s4
	v_lshlrev_b32_e32 v8, 4, v4
	s_mov_b32 s16, s12
	s_mov_b32 s23, 0x3fefac9e
	;; [unrolled: 1-line block ×4, first 2 shown]
	s_clause 0x9
	global_load_b128 v[4:7], v8, s[8:9] offset:352
	global_load_b128 v[10:13], v8, s[8:9] offset:496
	global_load_b128 v[14:17], v8, s[8:9] offset:368
	global_load_b128 v[20:23], v8, s[8:9] offset:480
	global_load_b128 v[24:27], v8, s[8:9] offset:384
	global_load_b128 v[28:31], v8, s[8:9] offset:464
	global_load_b128 v[32:35], v8, s[8:9] offset:400
	global_load_b128 v[38:41], v8, s[8:9] offset:448
	global_load_b128 v[44:47], v8, s[8:9] offset:416
	global_load_b128 v[64:67], v8, s[8:9] offset:432
	ds_load_b128 v[68:71], v63
	ds_load_b128 v[72:75], v61
	ds_load_b128 v[76:79], v60 offset:21120
	ds_load_b128 v[80:83], v60 offset:19008
	ds_load_b128 v[84:87], v62
	ds_load_b128 v[88:91], v60 offset:16896
	ds_load_b128 v[92:95], v60 offset:14784
	;; [unrolled: 1-line block ×5, first 2 shown]
	s_mov_b32 s36, s30
	s_mov_b32 s29, 0x3fe82f19
	;; [unrolled: 1-line block ×3, first 2 shown]
	s_wait_loadcnt_dscnt 0x909
	v_mul_f64_e32 v[8:9], v[70:71], v[6:7]
	v_mul_f64_e32 v[6:7], v[68:69], v[6:7]
	s_wait_loadcnt_dscnt 0x807
	v_mul_f64_e32 v[18:19], v[76:77], v[12:13]
	s_wait_loadcnt 0x7
	v_mul_f64_e32 v[36:37], v[72:73], v[16:17]
	s_wait_loadcnt_dscnt 0x606
	v_mul_f64_e32 v[42:43], v[80:81], v[22:23]
	v_mul_f64_e32 v[58:59], v[74:75], v[16:17]
	s_wait_loadcnt_dscnt 0x505
	v_mul_f64_e32 v[108:109], v[84:85], v[26:27]
	s_wait_loadcnt_dscnt 0x404
	v_mul_f64_e32 v[110:111], v[88:89], v[30:31]
	v_mul_f64_e32 v[112:113], v[78:79], v[12:13]
	;; [unrolled: 1-line block ×5, first 2 shown]
	s_wait_loadcnt_dscnt 0x1
	v_mul_f64_e32 v[120:121], v[100:101], v[66:67]
	v_mul_f64_e32 v[66:67], v[102:103], v[66:67]
	s_wait_dscnt 0x0
	v_mul_f64_e32 v[114:115], v[104:105], v[34:35]
	v_mul_f64_e32 v[34:35], v[106:107], v[34:35]
	;; [unrolled: 1-line block ×6, first 2 shown]
	v_fma_f64 v[68:69], v[68:69], v[4:5], v[8:9]
	v_fma_f64 v[70:71], v[70:71], v[4:5], -v[6:7]
	ds_load_b128 v[4:7], v60
	v_fma_f64 v[16:17], v[78:79], v[10:11], -v[18:19]
	v_fma_f64 v[74:75], v[74:75], v[14:15], -v[36:37]
	;; [unrolled: 1-line block ×3, first 2 shown]
	v_fma_f64 v[58:59], v[72:73], v[14:15], v[58:59]
	v_fma_f64 v[82:83], v[86:87], v[24:25], -v[108:109]
	v_fma_f64 v[12:13], v[90:91], v[28:29], -v[110:111]
	v_fma_f64 v[18:19], v[76:77], v[10:11], v[112:113]
	v_fma_f64 v[10:11], v[80:81], v[20:21], v[22:23]
	;; [unrolled: 1-line block ×4, first 2 shown]
	v_fma_f64 v[26:27], v[102:103], v[64:65], -v[120:121]
	v_fma_f64 v[28:29], v[100:101], v[64:65], v[66:67]
	v_fma_f64 v[22:23], v[106:107], v[32:33], -v[114:115]
	v_fma_f64 v[42:43], v[104:105], v[32:33], v[34:35]
	v_fma_f64 v[32:33], v[98:99], v[44:45], -v[118:119]
	v_fma_f64 v[20:21], v[94:95], v[38:39], -v[116:117]
	v_fma_f64 v[24:25], v[92:93], v[38:39], v[40:41]
	v_fma_f64 v[36:37], v[96:97], v[44:45], v[46:47]
	global_wb scope:SCOPE_SE
	s_wait_dscnt 0x0
	s_barrier_signal -1
	s_barrier_wait -1
	global_inv scope:SCOPE_SE
	v_add_f64_e32 v[72:73], v[4:5], v[68:69]
	v_add_f64_e32 v[78:79], v[6:7], v[70:71]
	v_add_f64_e64 v[64:65], v[70:71], -v[16:17]
	v_add_f64_e32 v[66:67], v[70:71], v[16:17]
	v_add_f64_e64 v[70:71], v[74:75], -v[8:9]
	v_add_f64_e32 v[80:81], v[74:75], v[8:9]
	v_add_f64_e32 v[84:85], v[82:83], v[12:13]
	;; [unrolled: 1-line block ×3, first 2 shown]
	v_add_f64_e64 v[46:47], v[68:69], -v[18:19]
	v_add_f64_e32 v[38:39], v[58:59], v[10:11]
	v_add_f64_e64 v[40:41], v[58:59], -v[10:11]
	v_add_f64_e32 v[34:35], v[76:77], v[14:15]
	;; [unrolled: 2-line block ×5, first 2 shown]
	v_add_f64_e64 v[96:97], v[36:37], -v[28:29]
	v_add_f64_e64 v[86:87], v[32:33], -v[26:27]
	v_add_f64_e32 v[72:73], v[72:73], v[58:59]
	v_add_f64_e32 v[74:75], v[78:79], v[74:75]
	;; [unrolled: 1-line block ×3, first 2 shown]
	v_mul_f64_e32 v[98:99], s[4:5], v[64:65]
	v_mul_f64_e32 v[100:101], s[10:11], v[66:67]
	;; [unrolled: 1-line block ×10, first 2 shown]
	v_add_f64_e64 v[78:79], v[82:83], -v[12:13]
	v_mul_f64_e32 v[114:115], s[12:13], v[70:71]
	v_mul_f64_e32 v[116:117], s[14:15], v[80:81]
	;; [unrolled: 1-line block ×8, first 2 shown]
	s_wait_alu 0xfffe
	v_mul_f64_e32 v[122:123], s[22:23], v[70:71]
	v_mul_f64_e32 v[124:125], s[20:21], v[80:81]
	;; [unrolled: 1-line block ×16, first 2 shown]
	v_add_f64_e32 v[72:73], v[72:73], v[76:77]
	v_add_f64_e32 v[74:75], v[74:75], v[82:83]
	v_mul_f64_e32 v[76:77], s[26:27], v[80:81]
	v_mul_f64_e32 v[82:83], s[36:37], v[70:71]
	;; [unrolled: 1-line block ×3, first 2 shown]
	v_fma_f64 v[174:175], v[44:45], s[14:15], v[102:103]
	v_fma_f64 v[176:177], v[46:47], s[16:17], v[104:105]
	v_fma_f64 v[102:103], v[44:45], s[14:15], -v[102:103]
	v_fma_f64 v[178:179], v[44:45], s[20:21], v[106:107]
	v_fma_f64 v[180:181], v[46:47], s[22:23], v[108:109]
	v_fma_f64 v[106:107], v[44:45], s[20:21], -v[106:107]
	v_fma_f64 v[182:183], v[44:45], s[26:27], v[110:111]
	v_fma_f64 v[184:185], v[46:47], s[28:29], v[112:113]
	v_mul_f64_e32 v[80:81], s[10:11], v[80:81]
	v_fma_f64 v[110:111], v[44:45], s[26:27], -v[110:111]
	v_fma_f64 v[186:187], v[44:45], s[34:35], v[64:65]
	v_fma_f64 v[188:189], v[46:47], s[36:37], v[66:67]
	;; [unrolled: 1-line block ×5, first 2 shown]
	v_mul_f64_e32 v[126:127], s[0:1], v[78:79]
	v_mul_f64_e32 v[130:131], s[36:37], v[78:79]
	v_fma_f64 v[190:191], v[38:39], s[26:27], v[118:119]
	v_mul_f64_e32 v[134:135], s[16:17], v[78:79]
	v_fma_f64 v[118:119], v[38:39], s[26:27], -v[118:119]
	v_fma_f64 v[196:197], v[40:41], s[30:31], v[120:121]
	v_mul_f64_e32 v[138:139], s[4:5], v[78:79]
	v_fma_f64 v[198:199], v[38:39], s[20:21], v[122:123]
	v_fma_f64 v[200:201], v[40:41], s[0:1], v[124:125]
	v_mul_f64_e32 v[78:79], s[24:25], v[78:79]
	v_fma_f64 v[122:123], v[38:39], s[20:21], -v[122:123]
	v_fma_f64 v[120:121], v[40:41], s[36:37], v[120:121]
	v_mul_f64_e32 v[144:145], s[26:27], v[58:59]
	v_mul_f64_e32 v[148:149], s[20:21], v[58:59]
	v_fma_f64 v[204:205], v[30:31], s[30:31], v[132:133]
	v_mul_f64_e32 v[152:153], s[10:11], v[58:59]
	v_fma_f64 v[208:209], v[30:31], s[12:13], v[136:137]
	v_mul_f64_e32 v[156:157], s[34:35], v[58:59]
	v_add_f64_e32 v[42:43], v[72:73], v[42:43]
	v_add_f64_e32 v[22:23], v[74:75], v[22:23]
	v_mul_f64_e32 v[72:73], s[20:21], v[88:89]
	v_fma_f64 v[74:75], v[44:45], s[10:11], v[98:99]
	v_fma_f64 v[88:89], v[46:47], s[18:19], v[100:101]
	v_fma_f64 v[98:99], v[44:45], s[10:11], -v[98:99]
	v_fma_f64 v[100:101], v[46:47], s[4:5], v[100:101]
	v_fma_f64 v[44:45], v[44:45], s[34:35], -v[64:65]
	v_fma_f64 v[46:47], v[46:47], s[30:31], v[66:67]
	v_fma_f64 v[64:65], v[38:39], s[14:15], v[114:115]
	;; [unrolled: 1-line block ×3, first 2 shown]
	v_fma_f64 v[114:115], v[38:39], s[14:15], -v[114:115]
	v_fma_f64 v[116:117], v[40:41], s[12:13], v[116:117]
	v_fma_f64 v[192:193], v[40:41], s[28:29], v[76:77]
	v_add_f64_e32 v[174:175], v[4:5], v[174:175]
	v_add_f64_e32 v[176:177], v[6:7], v[176:177]
	v_fma_f64 v[194:195], v[38:39], s[34:35], v[82:83]
	v_add_f64_e32 v[102:103], v[4:5], v[102:103]
	v_add_f64_e32 v[178:179], v[4:5], v[178:179]
	;; [unrolled: 1-line block ×3, first 2 shown]
	v_fma_f64 v[82:83], v[38:39], s[34:35], -v[82:83]
	v_add_f64_e32 v[106:107], v[4:5], v[106:107]
	v_add_f64_e32 v[182:183], v[4:5], v[182:183]
	;; [unrolled: 1-line block ×6, first 2 shown]
	v_fma_f64 v[76:77], v[40:41], s[24:25], v[76:77]
	v_add_f64_e32 v[108:109], v[6:7], v[108:109]
	v_add_f64_e32 v[104:105], v[6:7], v[104:105]
	v_fma_f64 v[202:203], v[34:35], s[34:35], v[130:131]
	v_fma_f64 v[206:207], v[34:35], s[14:15], v[134:135]
	v_mul_f64_e32 v[58:59], s[14:15], v[58:59]
	v_fma_f64 v[130:131], v[34:35], s[34:35], -v[130:131]
	v_fma_f64 v[134:135], v[34:35], s[14:15], -v[134:135]
	v_fma_f64 v[132:133], v[30:31], s[36:37], v[132:133]
	v_fma_f64 v[136:137], v[30:31], s[16:17], v[136:137]
	;; [unrolled: 1-line block ×3, first 2 shown]
	v_add_f64_e32 v[36:37], v[42:43], v[36:37]
	v_add_f64_e32 v[22:23], v[22:23], v[32:33]
	v_fma_f64 v[32:33], v[40:41], s[22:23], v[124:125]
	v_add_f64_e32 v[74:75], v[4:5], v[74:75]
	v_fma_f64 v[42:43], v[38:39], s[10:11], v[70:71]
	v_add_f64_e32 v[98:99], v[4:5], v[98:99]
	v_add_f64_e32 v[100:101], v[6:7], v[100:101]
	v_fma_f64 v[124:125], v[40:41], s[4:5], v[80:81]
	v_fma_f64 v[38:39], v[38:39], s[10:11], -v[70:71]
	v_fma_f64 v[40:41], v[40:41], s[18:19], v[80:81]
	v_add_f64_e32 v[4:5], v[4:5], v[44:45]
	v_add_f64_e32 v[44:45], v[6:7], v[46:47]
	;; [unrolled: 1-line block ×4, first 2 shown]
	v_fma_f64 v[70:71], v[34:35], s[20:21], v[126:127]
	v_fma_f64 v[80:81], v[30:31], s[22:23], v[128:129]
	v_fma_f64 v[126:127], v[34:35], s[20:21], -v[126:127]
	v_fma_f64 v[128:129], v[30:31], s[0:1], v[128:129]
	v_add_f64_e32 v[102:103], v[118:119], v[102:103]
	v_add_f64_e32 v[118:119], v[196:197], v[180:181]
	v_fma_f64 v[88:89], v[34:35], s[10:11], -v[138:139]
	v_add_f64_e32 v[82:83], v[82:83], v[106:107]
	v_add_f64_e32 v[106:107], v[198:199], v[182:183]
	v_fma_f64 v[112:113], v[30:31], s[4:5], v[140:141]
	v_add_f64_e32 v[110:111], v[122:123], v[110:111]
	v_fma_f64 v[212:213], v[92:93], s[0:1], v[148:149]
	v_mul_f64_e32 v[86:87], s[0:1], v[86:87]
	v_fma_f64 v[146:147], v[90:91], s[20:21], -v[146:147]
	v_fma_f64 v[148:149], v[92:93], s[22:23], v[148:149]
	v_add_f64_e32 v[28:29], v[36:37], v[28:29]
	v_add_f64_e32 v[22:23], v[22:23], v[26:27]
	v_fma_f64 v[26:27], v[34:35], s[10:11], v[138:139]
	v_add_f64_e32 v[64:65], v[64:65], v[74:75]
	v_fma_f64 v[36:37], v[30:31], s[18:19], v[140:141]
	v_add_f64_e32 v[74:75], v[114:115], v[98:99]
	v_add_f64_e32 v[98:99], v[116:117], v[100:101]
	;; [unrolled: 1-line block ×6, first 2 shown]
	v_fma_f64 v[138:139], v[34:35], s[26:27], v[78:79]
	v_fma_f64 v[34:35], v[34:35], s[26:27], -v[78:79]
	v_fma_f64 v[78:79], v[30:31], s[28:29], v[84:85]
	v_add_f64_e32 v[42:43], v[42:43], v[186:187]
	v_add_f64_e32 v[122:123], v[124:125], v[188:189]
	v_fma_f64 v[30:31], v[30:31], s[24:25], v[84:85]
	v_add_f64_e32 v[4:5], v[38:39], v[4:5]
	v_add_f64_e32 v[38:39], v[40:41], v[44:45]
	;; [unrolled: 1-line block ×6, first 2 shown]
	v_fma_f64 v[84:85], v[90:91], s[26:27], v[142:143]
	v_fma_f64 v[140:141], v[92:93], s[28:29], v[144:145]
	v_fma_f64 v[142:143], v[90:91], s[26:27], -v[142:143]
	v_fma_f64 v[144:145], v[92:93], s[24:25], v[144:145]
	v_fma_f64 v[76:77], v[90:91], s[34:35], v[154:155]
	v_fma_f64 v[104:105], v[92:93], s[36:37], v[156:157]
	v_fma_f64 v[46:47], v[90:91], s[10:11], -v[150:151]
	v_fma_f64 v[108:109], v[90:91], s[34:35], -v[154:155]
	v_fma_f64 v[124:125], v[90:91], s[14:15], v[68:69]
	v_fma_f64 v[68:69], v[90:91], s[14:15], -v[68:69]
	v_add_f64_e32 v[102:103], v[130:131], v[102:103]
	v_add_f64_e32 v[82:83], v[134:135], v[82:83]
	v_fma_f64 v[120:121], v[92:93], s[30:31], v[156:157]
	v_add_f64_e32 v[88:89], v[88:89], v[110:111]
	v_fma_f64 v[66:67], v[92:93], s[4:5], v[152:153]
	v_add_f64_e32 v[24:25], v[28:29], v[24:25]
	v_add_f64_e32 v[20:21], v[22:23], v[20:21]
	v_fma_f64 v[22:23], v[90:91], s[10:11], v[150:151]
	v_add_f64_e32 v[64:65], v[70:71], v[64:65]
	v_fma_f64 v[28:29], v[92:93], s[18:19], v[152:153]
	v_add_f64_e32 v[70:71], v[126:127], v[74:75]
	v_add_f64_e32 v[74:75], v[128:129], v[98:99]
	;; [unrolled: 1-line block ×8, first 2 shown]
	v_fma_f64 v[90:91], v[92:93], s[12:13], v[58:59]
	v_add_f64_e32 v[42:43], v[138:139], v[42:43]
	v_add_f64_e32 v[78:79], v[78:79], v[122:123]
	v_fma_f64 v[58:59], v[92:93], s[16:17], v[58:59]
	v_add_f64_e32 v[4:5], v[34:35], v[4:5]
	v_add_f64_e32 v[30:31], v[30:31], v[38:39]
	;; [unrolled: 1-line block ×6, first 2 shown]
	v_fma_f64 v[40:41], v[96:97], s[4:5], v[164:165]
	v_fma_f64 v[150:151], v[96:97], s[36:37], v[160:161]
	;; [unrolled: 1-line block ×14, first 2 shown]
	v_fma_f64 v[152:153], v[94:95], s[34:35], -v[158:159]
	v_add_f64_e32 v[14:15], v[24:25], v[14:15]
	v_add_f64_e32 v[12:13], v[20:21], v[12:13]
	v_fma_f64 v[24:25], v[94:95], s[10:11], v[162:163]
	v_add_f64_e32 v[20:21], v[84:85], v[64:65]
	v_fma_f64 v[44:45], v[94:95], s[10:11], -v[162:163]
	v_add_f64_e32 v[64:65], v[142:143], v[70:71]
	v_add_f64_e32 v[70:71], v[144:145], v[74:75]
	;; [unrolled: 1-line block ×8, first 2 shown]
	v_fma_f64 v[112:113], v[94:95], s[26:27], -v[166:167]
	v_add_f64_e32 v[42:43], v[124:125], v[42:43]
	v_add_f64_e32 v[78:79], v[90:91], v[78:79]
	v_fma_f64 v[128:129], v[94:95], s[14:15], -v[170:171]
	v_fma_f64 v[86:87], v[94:95], s[20:21], -v[86:87]
	v_add_f64_e32 v[94:95], v[146:147], v[102:103]
	v_add_f64_e32 v[46:47], v[46:47], v[82:83]
	;; [unrolled: 1-line block ×9, first 2 shown]
	v_cmp_gt_u32_e64 s0, 0x63, v50
	v_add_f64_e32 v[98:99], v[14:15], v[10:11]
	v_add_f64_e32 v[100:101], v[12:13], v[8:9]
	;; [unrolled: 1-line block ×24, first 2 shown]
	v_and_b32_e32 v16, 0xffff, v51
	v_lshlrev_b32_e32 v17, 4, v55
	s_delay_alu instid0(VALU_DEP_2) | instskip(NEXT) | instid1(VALU_DEP_1)
	v_mul_u32_u24_e32 v16, 0x16b0, v16
	v_add3_u32 v16, 0, v16, v17
	ds_store_b128 v16, v[24:27] offset:1056
	ds_store_b128 v16, v[28:31] offset:1584
	;; [unrolled: 1-line block ×9, first 2 shown]
	ds_store_b128 v16, v[64:67]
	ds_store_b128 v16, v[20:23] offset:528
	global_wb scope:SCOPE_SE
	s_wait_dscnt 0x0
	s_barrier_signal -1
	s_barrier_wait -1
	global_inv scope:SCOPE_SE
	ds_load_b128 v[16:19], v60
	ds_load_b128 v[40:43], v60 offset:5808
	ds_load_b128 v[36:39], v60 offset:11616
	;; [unrolled: 1-line block ×5, first 2 shown]
	ds_load_b128 v[20:23], v63
	ds_load_b128 v[32:35], v60 offset:19536
	s_and_saveexec_b32 s1, s0
	s_cbranch_execz .LBB0_19
; %bb.18:
	ds_load_b128 v[8:11], v60 offset:10032
	ds_load_b128 v[12:15], v60 offset:15840
	ds_load_b128 v[4:7], v61
	ds_load_b128 v[0:3], v60 offset:21648
.LBB0_19:
	s_wait_alu 0xfffe
	s_or_b32 exec_lo, exec_lo, s1
	v_mul_i32_i24_e32 v58, 3, v54
	v_mov_b32_e32 v59, 0
	v_mul_u32_u24_e32 v51, 3, v50
	s_delay_alu instid0(VALU_DEP_2) | instskip(NEXT) | instid1(VALU_DEP_2)
	v_lshlrev_b64_e32 v[68:69], 4, v[58:59]
	v_lshlrev_b32_e32 v51, 4, v51
	global_load_b128 v[64:67], v51, s[8:9] offset:5632
	v_add_co_u32 v84, s1, s8, v68
	s_wait_alu 0xf1ff
	v_add_co_ci_u32_e64 v85, s1, s9, v69, s1
	s_clause 0x4
	global_load_b128 v[68:71], v51, s[8:9] offset:5648
	global_load_b128 v[72:75], v51, s[8:9] offset:5664
	global_load_b128 v[76:79], v[84:85], off offset:5632
	global_load_b128 v[80:83], v[84:85], off offset:5648
	;; [unrolled: 1-line block ×3, first 2 shown]
	global_wb scope:SCOPE_SE
	s_wait_loadcnt_dscnt 0x0
	s_barrier_signal -1
	s_barrier_wait -1
	global_inv scope:SCOPE_SE
	v_mul_f64_e32 v[88:89], v[42:43], v[66:67]
	v_mul_f64_e32 v[66:67], v[40:41], v[66:67]
	;; [unrolled: 1-line block ×12, first 2 shown]
	v_fma_f64 v[40:41], v[40:41], v[64:65], v[88:89]
	v_fma_f64 v[42:43], v[42:43], v[64:65], -v[66:67]
	v_fma_f64 v[36:37], v[36:37], v[68:69], v[90:91]
	v_fma_f64 v[38:39], v[38:39], v[68:69], -v[70:71]
	;; [unrolled: 2-line block ×6, first 2 shown]
	v_add_f64_e64 v[36:37], v[16:17], -v[36:37]
	v_add_f64_e64 v[38:39], v[18:19], -v[38:39]
	;; [unrolled: 1-line block ×8, first 2 shown]
	v_fma_f64 v[68:69], v[16:17], 2.0, -v[36:37]
	v_fma_f64 v[70:71], v[18:19], 2.0, -v[38:39]
	;; [unrolled: 1-line block ×4, first 2 shown]
	v_add_f64_e32 v[16:17], v[36:37], v[46:47]
	v_add_f64_e64 v[18:19], v[38:39], -v[44:45]
	v_fma_f64 v[72:73], v[20:21], 2.0, -v[64:65]
	v_fma_f64 v[74:75], v[22:23], 2.0, -v[66:67]
	;; [unrolled: 1-line block ×4, first 2 shown]
	v_add_f64_e32 v[20:21], v[64:65], v[28:29]
	v_add_f64_e64 v[24:25], v[68:69], -v[30:31]
	v_add_f64_e64 v[26:27], v[70:71], -v[34:35]
	v_fma_f64 v[34:35], v[38:39], 2.0, -v[18:19]
	v_add_f64_e64 v[28:29], v[72:73], -v[22:23]
	v_add_f64_e64 v[30:31], v[74:75], -v[40:41]
	;; [unrolled: 1-line block ×3, first 2 shown]
	v_fma_f64 v[32:33], v[36:37], 2.0, -v[16:17]
	v_fma_f64 v[36:37], v[64:65], 2.0, -v[20:21]
	;; [unrolled: 1-line block ×7, first 2 shown]
	ds_store_b128 v60, v[24:27] offset:11616
	ds_store_b128 v60, v[16:19] offset:17424
	ds_store_b128 v60, v[40:43]
	ds_store_b128 v60, v[32:35] offset:5808
	ds_store_b128 v63, v[44:47]
	ds_store_b128 v63, v[36:39] offset:5808
	ds_store_b128 v63, v[28:31] offset:11616
	;; [unrolled: 1-line block ×3, first 2 shown]
	s_and_saveexec_b32 s1, s0
	s_cbranch_execz .LBB0_21
; %bb.20:
	v_add_nc_u32_e32 v16, 0xffffff9d, v50
	s_delay_alu instid0(VALU_DEP_1) | instskip(NEXT) | instid1(VALU_DEP_1)
	v_cndmask_b32_e64 v16, v16, v57, s0
	v_mul_i32_i24_e32 v58, 3, v16
	s_delay_alu instid0(VALU_DEP_1) | instskip(NEXT) | instid1(VALU_DEP_1)
	v_lshlrev_b64_e32 v[16:17], 4, v[58:59]
	v_add_co_u32 v24, s0, s8, v16
	s_wait_alu 0xf1ff
	s_delay_alu instid0(VALU_DEP_2)
	v_add_co_ci_u32_e64 v25, s0, s9, v17, s0
	s_clause 0x2
	global_load_b128 v[16:19], v[24:25], off offset:5648
	global_load_b128 v[20:23], v[24:25], off offset:5632
	global_load_b128 v[24:27], v[24:25], off offset:5664
	s_wait_loadcnt 0x2
	v_mul_f64_e32 v[28:29], v[12:13], v[18:19]
	s_wait_loadcnt 0x1
	v_mul_f64_e32 v[30:31], v[10:11], v[22:23]
	v_mul_f64_e32 v[22:23], v[8:9], v[22:23]
	s_wait_loadcnt 0x0
	v_mul_f64_e32 v[32:33], v[0:1], v[26:27]
	v_mul_f64_e32 v[18:19], v[14:15], v[18:19]
	;; [unrolled: 1-line block ×3, first 2 shown]
	v_fma_f64 v[14:15], v[14:15], v[16:17], -v[28:29]
	v_fma_f64 v[8:9], v[8:9], v[20:21], v[30:31]
	v_fma_f64 v[10:11], v[10:11], v[20:21], -v[22:23]
	v_fma_f64 v[2:3], v[2:3], v[24:25], -v[32:33]
	v_fma_f64 v[12:13], v[12:13], v[16:17], v[18:19]
	v_fma_f64 v[0:1], v[0:1], v[24:25], v[26:27]
	v_add_f64_e64 v[14:15], v[6:7], -v[14:15]
	s_delay_alu instid0(VALU_DEP_4) | instskip(NEXT) | instid1(VALU_DEP_4)
	v_add_f64_e64 v[16:17], v[10:11], -v[2:3]
	v_add_f64_e64 v[18:19], v[4:5], -v[12:13]
	s_delay_alu instid0(VALU_DEP_4) | instskip(NEXT) | instid1(VALU_DEP_4)
	v_add_f64_e64 v[0:1], v[8:9], -v[0:1]
	v_fma_f64 v[12:13], v[6:7], 2.0, -v[14:15]
	s_delay_alu instid0(VALU_DEP_4) | instskip(NEXT) | instid1(VALU_DEP_4)
	v_fma_f64 v[6:7], v[10:11], 2.0, -v[16:17]
	v_fma_f64 v[20:21], v[4:5], 2.0, -v[18:19]
	s_delay_alu instid0(VALU_DEP_4) | instskip(SKIP_3) | instid1(VALU_DEP_4)
	v_fma_f64 v[4:5], v[8:9], 2.0, -v[0:1]
	v_add_f64_e64 v[2:3], v[14:15], -v[0:1]
	v_add_f64_e32 v[0:1], v[18:19], v[16:17]
	v_add_f64_e64 v[6:7], v[12:13], -v[6:7]
	v_add_f64_e64 v[4:5], v[20:21], -v[4:5]
	s_delay_alu instid0(VALU_DEP_4) | instskip(NEXT) | instid1(VALU_DEP_4)
	v_fma_f64 v[10:11], v[14:15], 2.0, -v[2:3]
	v_fma_f64 v[8:9], v[18:19], 2.0, -v[0:1]
	s_delay_alu instid0(VALU_DEP_4) | instskip(NEXT) | instid1(VALU_DEP_4)
	v_fma_f64 v[14:15], v[12:13], 2.0, -v[6:7]
	v_fma_f64 v[12:13], v[20:21], 2.0, -v[4:5]
	ds_store_b128 v60, v[12:15] offset:4224
	ds_store_b128 v60, v[8:11] offset:10032
	;; [unrolled: 1-line block ×4, first 2 shown]
.LBB0_21:
	s_wait_alu 0xfffe
	s_or_b32 exec_lo, exec_lo, s1
	global_wb scope:SCOPE_SE
	s_wait_dscnt 0x0
	s_barrier_signal -1
	s_barrier_wait -1
	global_inv scope:SCOPE_SE
	ds_load_b128 v[4:7], v60
	v_lshlrev_b32_e32 v0, 4, v50
	s_mov_b32 s1, exec_lo
                                        ; implicit-def: $vgpr2_vgpr3
                                        ; implicit-def: $vgpr10_vgpr11
                                        ; implicit-def: $vgpr8_vgpr9
	s_delay_alu instid0(VALU_DEP_1)
	v_sub_nc_u32_e32 v12, 0, v0
	v_cmpx_ne_u32_e32 0, v50
	s_wait_alu 0xfffe
	s_xor_b32 s1, exec_lo, s1
	s_cbranch_execz .LBB0_23
; %bb.22:
	v_mov_b32_e32 v51, 0
	s_delay_alu instid0(VALU_DEP_1) | instskip(NEXT) | instid1(VALU_DEP_1)
	v_lshlrev_b64_e32 v[0:1], 4, v[50:51]
	v_add_co_u32 v0, s0, s8, v0
	s_wait_alu 0xf1ff
	s_delay_alu instid0(VALU_DEP_2)
	v_add_co_ci_u32_e64 v1, s0, s9, v1, s0
	global_load_b128 v[8:11], v[0:1], off offset:23056
	ds_load_b128 v[0:3], v12 offset:23232
	s_wait_dscnt 0x0
	v_add_f64_e64 v[13:14], v[4:5], -v[0:1]
	v_add_f64_e32 v[15:16], v[6:7], v[2:3]
	v_add_f64_e64 v[2:3], v[6:7], -v[2:3]
	v_add_f64_e32 v[0:1], v[4:5], v[0:1]
	s_delay_alu instid0(VALU_DEP_4) | instskip(NEXT) | instid1(VALU_DEP_4)
	v_mul_f64_e32 v[6:7], 0.5, v[13:14]
	v_mul_f64_e32 v[4:5], 0.5, v[15:16]
	s_delay_alu instid0(VALU_DEP_4) | instskip(SKIP_1) | instid1(VALU_DEP_3)
	v_mul_f64_e32 v[2:3], 0.5, v[2:3]
	s_wait_loadcnt 0x0
	v_mul_f64_e32 v[13:14], v[6:7], v[10:11]
	s_delay_alu instid0(VALU_DEP_2) | instskip(SKIP_1) | instid1(VALU_DEP_3)
	v_fma_f64 v[15:16], v[4:5], v[10:11], v[2:3]
	v_fma_f64 v[2:3], v[4:5], v[10:11], -v[2:3]
	v_fma_f64 v[17:18], v[0:1], 0.5, v[13:14]
	v_fma_f64 v[0:1], v[0:1], 0.5, -v[13:14]
	s_delay_alu instid0(VALU_DEP_4) | instskip(NEXT) | instid1(VALU_DEP_4)
	v_fma_f64 v[10:11], -v[8:9], v[6:7], v[15:16]
	v_fma_f64 v[2:3], -v[8:9], v[6:7], v[2:3]
	s_delay_alu instid0(VALU_DEP_4) | instskip(NEXT) | instid1(VALU_DEP_4)
	v_fma_f64 v[13:14], v[4:5], v[8:9], v[17:18]
	v_fma_f64 v[0:1], -v[4:5], v[8:9], v[0:1]
	v_dual_mov_b32 v8, v50 :: v_dual_mov_b32 v9, v51
                                        ; implicit-def: $vgpr4_vgpr5
	ds_store_b64 v60, v[13:14]
.LBB0_23:
	s_wait_alu 0xfffe
	s_and_not1_saveexec_b32 s0, s1
	s_cbranch_execz .LBB0_25
; %bb.24:
	s_wait_dscnt 0x0
	v_add_f64_e32 v[13:14], v[4:5], v[6:7]
	v_add_f64_e64 v[0:1], v[4:5], -v[6:7]
	v_mov_b32_e32 v6, 0
	v_mov_b32_e32 v10, 0
	v_dual_mov_b32 v11, 0 :: v_dual_mov_b32 v8, 0
	s_delay_alu instid0(VALU_DEP_2)
	v_mov_b32_e32 v2, v10
	ds_load_b64 v[4:5], v6 offset:11624
	v_mov_b32_e32 v9, 0
	v_mov_b32_e32 v3, v11
	s_wait_dscnt 0x0
	v_xor_b32_e32 v5, 0x80000000, v5
	ds_store_b64 v60, v[13:14]
	ds_store_b64 v6, v[4:5] offset:11624
.LBB0_25:
	s_wait_alu 0xfffe
	s_or_b32 exec_lo, exec_lo, s0
	v_mov_b32_e32 v55, 0
	s_wait_dscnt 0x0
	s_delay_alu instid0(VALU_DEP_1) | instskip(SKIP_1) | instid1(VALU_DEP_1)
	v_lshlrev_b64_e32 v[4:5], 4, v[54:55]
	v_mov_b32_e32 v58, v55
	v_lshlrev_b64_e32 v[13:14], 4, v[57:58]
	v_mov_b32_e32 v57, v55
	s_delay_alu instid0(VALU_DEP_4) | instskip(SKIP_2) | instid1(VALU_DEP_4)
	v_add_co_u32 v4, s0, s8, v4
	s_wait_alu 0xf1ff
	v_add_co_ci_u32_e64 v5, s0, s9, v5, s0
	v_add_co_u32 v13, s0, s8, v13
	s_wait_alu 0xf1ff
	v_add_co_ci_u32_e64 v14, s0, s9, v14, s0
	global_load_b128 v[4:7], v[4:5], off offset:23056
	s_add_nc_u64 s[0:1], s[8:9], 0x5a10
	global_load_b128 v[13:16], v[13:14], off offset:23056
	ds_store_b64 v60, v[10:11] offset:8
	ds_store_b128 v12, v[0:3] offset:23232
	ds_load_b128 v[17:20], v63
	ds_load_b128 v[21:24], v12 offset:21120
	s_wait_dscnt 0x0
	v_add_f64_e64 v[0:1], v[17:18], -v[21:22]
	v_add_f64_e32 v[2:3], v[19:20], v[23:24]
	v_add_f64_e64 v[19:20], v[19:20], -v[23:24]
	v_add_f64_e32 v[17:18], v[17:18], v[21:22]
	s_delay_alu instid0(VALU_DEP_4) | instskip(NEXT) | instid1(VALU_DEP_4)
	v_mul_f64_e32 v[23:24], 0.5, v[0:1]
	v_mul_f64_e32 v[2:3], 0.5, v[2:3]
	s_delay_alu instid0(VALU_DEP_4) | instskip(SKIP_2) | instid1(VALU_DEP_1)
	v_mul_f64_e32 v[19:20], 0.5, v[19:20]
	v_lshlrev_b64_e32 v[0:1], 4, v[8:9]
	s_wait_alu 0xfffe
	v_add_co_u32 v0, s0, s0, v0
	s_wait_alu 0xf1ff
	s_delay_alu instid0(VALU_DEP_2)
	v_add_co_ci_u32_e64 v1, s0, s1, v1, s0
	s_mov_b32 s1, exec_lo
	global_load_b128 v[8:11], v[0:1], off offset:8448
	s_wait_loadcnt 0x2
	v_mul_f64_e32 v[21:22], v[23:24], v[6:7]
	v_fma_f64 v[25:26], v[2:3], v[6:7], v[19:20]
	v_fma_f64 v[6:7], v[2:3], v[6:7], -v[19:20]
	s_delay_alu instid0(VALU_DEP_3) | instskip(SKIP_1) | instid1(VALU_DEP_4)
	v_fma_f64 v[27:28], v[17:18], 0.5, v[21:22]
	v_fma_f64 v[21:22], v[17:18], 0.5, -v[21:22]
	v_fma_f64 v[19:20], -v[4:5], v[23:24], v[25:26]
	s_delay_alu instid0(VALU_DEP_4) | instskip(NEXT) | instid1(VALU_DEP_4)
	v_fma_f64 v[6:7], -v[4:5], v[23:24], v[6:7]
	v_fma_f64 v[17:18], v[2:3], v[4:5], v[27:28]
	s_delay_alu instid0(VALU_DEP_4) | instskip(SKIP_1) | instid1(VALU_DEP_1)
	v_fma_f64 v[4:5], -v[2:3], v[4:5], v[21:22]
	v_lshlrev_b64_e32 v[2:3], 4, v[56:57]
	v_add_co_u32 v2, s0, s8, v2
	s_wait_alu 0xf1ff
	s_delay_alu instid0(VALU_DEP_2)
	v_add_co_ci_u32_e64 v3, s0, s9, v3, s0
	global_load_b128 v[21:24], v[2:3], off offset:23056
	ds_store_b128 v63, v[17:20]
	ds_store_b128 v12, v[4:7] offset:21120
	ds_load_b128 v[2:5], v61
	ds_load_b128 v[17:20], v12 offset:19008
	s_wait_dscnt 0x0
	v_add_f64_e64 v[6:7], v[2:3], -v[17:18]
	v_add_f64_e32 v[25:26], v[4:5], v[19:20]
	v_add_f64_e64 v[4:5], v[4:5], -v[19:20]
	v_add_f64_e32 v[2:3], v[2:3], v[17:18]
	s_delay_alu instid0(VALU_DEP_4) | instskip(NEXT) | instid1(VALU_DEP_4)
	v_mul_f64_e32 v[6:7], 0.5, v[6:7]
	v_mul_f64_e32 v[19:20], 0.5, v[25:26]
	s_delay_alu instid0(VALU_DEP_4) | instskip(SKIP_1) | instid1(VALU_DEP_3)
	v_mul_f64_e32 v[4:5], 0.5, v[4:5]
	s_wait_loadcnt 0x2
	v_mul_f64_e32 v[17:18], v[6:7], v[15:16]
	s_delay_alu instid0(VALU_DEP_2) | instskip(SKIP_1) | instid1(VALU_DEP_3)
	v_fma_f64 v[25:26], v[19:20], v[15:16], v[4:5]
	v_fma_f64 v[15:16], v[19:20], v[15:16], -v[4:5]
	v_fma_f64 v[27:28], v[2:3], 0.5, v[17:18]
	v_fma_f64 v[17:18], v[2:3], 0.5, -v[17:18]
	s_delay_alu instid0(VALU_DEP_4) | instskip(NEXT) | instid1(VALU_DEP_4)
	v_fma_f64 v[4:5], -v[13:14], v[6:7], v[25:26]
	v_fma_f64 v[15:16], -v[13:14], v[6:7], v[15:16]
	s_delay_alu instid0(VALU_DEP_4) | instskip(NEXT) | instid1(VALU_DEP_4)
	v_fma_f64 v[2:3], v[19:20], v[13:14], v[27:28]
	v_fma_f64 v[13:14], -v[19:20], v[13:14], v[17:18]
	ds_store_b128 v61, v[2:5]
	ds_store_b128 v12, v[13:16] offset:19008
	ds_load_b128 v[2:5], v62
	ds_load_b128 v[13:16], v12 offset:16896
	s_wait_dscnt 0x0
	v_add_f64_e64 v[6:7], v[2:3], -v[13:14]
	v_add_f64_e32 v[17:18], v[4:5], v[15:16]
	v_add_f64_e64 v[4:5], v[4:5], -v[15:16]
	v_add_f64_e32 v[2:3], v[2:3], v[13:14]
	s_delay_alu instid0(VALU_DEP_4) | instskip(NEXT) | instid1(VALU_DEP_4)
	v_mul_f64_e32 v[6:7], 0.5, v[6:7]
	v_mul_f64_e32 v[17:18], 0.5, v[17:18]
	s_delay_alu instid0(VALU_DEP_4) | instskip(SKIP_1) | instid1(VALU_DEP_3)
	v_mul_f64_e32 v[4:5], 0.5, v[4:5]
	s_wait_loadcnt 0x0
	v_mul_f64_e32 v[13:14], v[6:7], v[23:24]
	s_delay_alu instid0(VALU_DEP_2) | instskip(SKIP_1) | instid1(VALU_DEP_3)
	v_fma_f64 v[15:16], v[17:18], v[23:24], v[4:5]
	v_fma_f64 v[19:20], v[17:18], v[23:24], -v[4:5]
	v_fma_f64 v[23:24], v[2:3], 0.5, v[13:14]
	v_fma_f64 v[13:14], v[2:3], 0.5, -v[13:14]
	s_delay_alu instid0(VALU_DEP_4) | instskip(NEXT) | instid1(VALU_DEP_4)
	v_fma_f64 v[4:5], -v[21:22], v[6:7], v[15:16]
	v_fma_f64 v[15:16], -v[21:22], v[6:7], v[19:20]
	s_delay_alu instid0(VALU_DEP_4) | instskip(NEXT) | instid1(VALU_DEP_4)
	v_fma_f64 v[2:3], v[17:18], v[21:22], v[23:24]
	v_fma_f64 v[13:14], -v[17:18], v[21:22], v[13:14]
	ds_store_b128 v62, v[2:5]
	ds_store_b128 v12, v[13:16] offset:16896
	ds_load_b128 v[2:5], v60 offset:8448
	ds_load_b128 v[13:16], v12 offset:14784
	s_wait_dscnt 0x0
	v_add_f64_e64 v[6:7], v[2:3], -v[13:14]
	v_add_f64_e32 v[17:18], v[4:5], v[15:16]
	v_add_f64_e64 v[4:5], v[4:5], -v[15:16]
	v_add_f64_e32 v[2:3], v[2:3], v[13:14]
	s_delay_alu instid0(VALU_DEP_4) | instskip(NEXT) | instid1(VALU_DEP_4)
	v_mul_f64_e32 v[6:7], 0.5, v[6:7]
	v_mul_f64_e32 v[15:16], 0.5, v[17:18]
	s_delay_alu instid0(VALU_DEP_4) | instskip(NEXT) | instid1(VALU_DEP_3)
	v_mul_f64_e32 v[4:5], 0.5, v[4:5]
	v_mul_f64_e32 v[13:14], v[6:7], v[10:11]
	s_delay_alu instid0(VALU_DEP_2) | instskip(SKIP_1) | instid1(VALU_DEP_3)
	v_fma_f64 v[17:18], v[15:16], v[10:11], v[4:5]
	v_fma_f64 v[10:11], v[15:16], v[10:11], -v[4:5]
	v_fma_f64 v[19:20], v[2:3], 0.5, v[13:14]
	v_fma_f64 v[13:14], v[2:3], 0.5, -v[13:14]
	s_delay_alu instid0(VALU_DEP_4) | instskip(NEXT) | instid1(VALU_DEP_4)
	v_fma_f64 v[4:5], -v[8:9], v[6:7], v[17:18]
	v_fma_f64 v[10:11], -v[8:9], v[6:7], v[10:11]
	s_delay_alu instid0(VALU_DEP_4) | instskip(NEXT) | instid1(VALU_DEP_4)
	v_fma_f64 v[2:3], v[15:16], v[8:9], v[19:20]
	v_fma_f64 v[8:9], -v[15:16], v[8:9], v[13:14]
	ds_store_b128 v60, v[2:5] offset:8448
	ds_store_b128 v12, v[8:11] offset:14784
	v_cmpx_gt_u32_e32 0x42, v50
	s_cbranch_execz .LBB0_27
; %bb.26:
	global_load_b128 v[0:3], v[0:1], off offset:10560
	ds_load_b128 v[4:7], v60 offset:10560
	ds_load_b128 v[8:11], v12 offset:12672
	s_wait_dscnt 0x0
	v_add_f64_e64 v[13:14], v[4:5], -v[8:9]
	v_add_f64_e32 v[15:16], v[6:7], v[10:11]
	v_add_f64_e64 v[6:7], v[6:7], -v[10:11]
	v_add_f64_e32 v[4:5], v[4:5], v[8:9]
	s_delay_alu instid0(VALU_DEP_4) | instskip(NEXT) | instid1(VALU_DEP_4)
	v_mul_f64_e32 v[10:11], 0.5, v[13:14]
	v_mul_f64_e32 v[13:14], 0.5, v[15:16]
	s_delay_alu instid0(VALU_DEP_4) | instskip(SKIP_1) | instid1(VALU_DEP_3)
	v_mul_f64_e32 v[6:7], 0.5, v[6:7]
	s_wait_loadcnt 0x0
	v_mul_f64_e32 v[8:9], v[10:11], v[2:3]
	s_delay_alu instid0(VALU_DEP_2) | instskip(SKIP_1) | instid1(VALU_DEP_3)
	v_fma_f64 v[15:16], v[13:14], v[2:3], v[6:7]
	v_fma_f64 v[2:3], v[13:14], v[2:3], -v[6:7]
	v_fma_f64 v[6:7], v[4:5], 0.5, v[8:9]
	v_fma_f64 v[17:18], v[4:5], 0.5, -v[8:9]
	s_delay_alu instid0(VALU_DEP_4) | instskip(NEXT) | instid1(VALU_DEP_4)
	v_fma_f64 v[4:5], -v[0:1], v[10:11], v[15:16]
	v_fma_f64 v[8:9], -v[0:1], v[10:11], v[2:3]
	s_delay_alu instid0(VALU_DEP_4) | instskip(NEXT) | instid1(VALU_DEP_4)
	v_fma_f64 v[2:3], v[13:14], v[0:1], v[6:7]
	v_fma_f64 v[6:7], -v[13:14], v[0:1], v[17:18]
	ds_store_b128 v60, v[2:5] offset:10560
	ds_store_b128 v12, v[6:9] offset:12672
.LBB0_27:
	s_wait_alu 0xfffe
	s_or_b32 exec_lo, exec_lo, s1
	global_wb scope:SCOPE_SE
	s_wait_dscnt 0x0
	s_barrier_signal -1
	s_barrier_wait -1
	global_inv scope:SCOPE_SE
	s_and_saveexec_b32 s0, vcc_lo
	s_cbranch_execz .LBB0_30
; %bb.28:
	v_mul_lo_u32 v2, s3, v52
	v_mul_lo_u32 v3, s2, v53
	v_mad_co_u64_u32 v[0:1], null, s2, v52, 0
	v_lshl_add_u32 v31, v50, 4, 0
	v_dual_mov_b32 v51, 0 :: v_dual_add_nc_u32 v12, 0x84, v50
	v_lshlrev_b64_e32 v[10:11], 4, v[48:49]
	v_add_nc_u32_e32 v26, 0x318, v50
	v_add_nc_u32_e32 v24, 0x294, v50
	v_add3_u32 v1, v1, v3, v2
	ds_load_b128 v[2:5], v31
	ds_load_b128 v[6:9], v31 offset:2112
	v_mov_b32_e32 v13, v51
	v_lshlrev_b64_e32 v[14:15], 4, v[50:51]
	v_mov_b32_e32 v25, v51
	v_lshlrev_b64_e32 v[0:1], 4, v[0:1]
	v_dual_mov_b32 v27, v51 :: v_dual_add_nc_u32 v30, 0x528, v50
	s_delay_alu instid0(VALU_DEP_3) | instskip(NEXT) | instid1(VALU_DEP_3)
	v_lshlrev_b64_e32 v[24:25], 4, v[24:25]
	v_add_co_u32 v0, vcc_lo, s6, v0
	s_wait_alu 0xfffd
	s_delay_alu instid0(VALU_DEP_4) | instskip(NEXT) | instid1(VALU_DEP_2)
	v_add_co_ci_u32_e32 v1, vcc_lo, s7, v1, vcc_lo
	v_add_co_u32 v0, vcc_lo, v0, v10
	s_wait_alu 0xfffd
	s_delay_alu instid0(VALU_DEP_2) | instskip(SKIP_1) | instid1(VALU_DEP_3)
	v_add_co_ci_u32_e32 v1, vcc_lo, v1, v11, vcc_lo
	v_lshlrev_b64_e32 v[10:11], 4, v[12:13]
	v_add_co_u32 v12, vcc_lo, v0, v14
	s_wait_alu 0xfffd
	s_delay_alu instid0(VALU_DEP_3) | instskip(SKIP_1) | instid1(VALU_DEP_4)
	v_add_co_ci_u32_e32 v13, vcc_lo, v1, v15, vcc_lo
	v_add_nc_u32_e32 v14, 0x108, v50
	v_add_co_u32 v10, vcc_lo, v0, v10
	v_mov_b32_e32 v15, v51
	s_wait_alu 0xfffd
	v_add_co_ci_u32_e32 v11, vcc_lo, v1, v11, vcc_lo
	s_wait_dscnt 0x1
	global_store_b128 v[12:13], v[2:5], off
	s_wait_dscnt 0x0
	global_store_b128 v[10:11], v[6:9], off
	v_add_nc_u32_e32 v10, 0x18c, v50
	v_lshlrev_b64_e32 v[2:3], 4, v[14:15]
	v_dual_mov_b32 v11, v51 :: v_dual_add_nc_u32 v12, 0x210, v50
	v_mov_b32_e32 v13, v51
	s_delay_alu instid0(VALU_DEP_3) | instskip(SKIP_1) | instid1(VALU_DEP_4)
	v_add_co_u32 v18, vcc_lo, v0, v2
	s_wait_alu 0xfffd
	v_add_co_ci_u32_e32 v19, vcc_lo, v1, v3, vcc_lo
	ds_load_b128 v[2:5], v31 offset:4224
	ds_load_b128 v[6:9], v31 offset:6336
	v_lshlrev_b64_e32 v[20:21], 4, v[10:11]
	v_lshlrev_b64_e32 v[22:23], 4, v[12:13]
	ds_load_b128 v[10:13], v31 offset:8448
	ds_load_b128 v[14:17], v31 offset:10560
	v_add_co_u32 v20, vcc_lo, v0, v20
	s_wait_alu 0xfffd
	v_add_co_ci_u32_e32 v21, vcc_lo, v1, v21, vcc_lo
	v_add_co_u32 v22, vcc_lo, v0, v22
	s_wait_alu 0xfffd
	v_add_co_ci_u32_e32 v23, vcc_lo, v1, v23, vcc_lo
	;; [unrolled: 3-line block ×3, first 2 shown]
	s_wait_dscnt 0x3
	global_store_b128 v[18:19], v[2:5], off
	s_wait_dscnt 0x2
	global_store_b128 v[20:21], v[6:9], off
	;; [unrolled: 2-line block ×4, first 2 shown]
	v_dual_mov_b32 v11, v51 :: v_dual_add_nc_u32 v10, 0x39c, v50
	v_add_nc_u32_e32 v12, 0x420, v50
	v_lshlrev_b64_e32 v[2:3], 4, v[26:27]
	v_dual_mov_b32 v13, v51 :: v_dual_add_nc_u32 v18, 0x4a4, v50
	s_delay_alu instid0(VALU_DEP_4) | instskip(SKIP_1) | instid1(VALU_DEP_4)
	v_lshlrev_b64_e32 v[10:11], 4, v[10:11]
	v_mov_b32_e32 v19, v51
	v_add_co_u32 v22, vcc_lo, v0, v2
	s_wait_alu 0xfffd
	v_add_co_ci_u32_e32 v23, vcc_lo, v1, v3, vcc_lo
	s_delay_alu instid0(VALU_DEP_4)
	v_add_co_u32 v24, vcc_lo, v0, v10
	ds_load_b128 v[2:5], v31 offset:12672
	ds_load_b128 v[6:9], v31 offset:14784
	s_wait_alu 0xfffd
	v_add_co_ci_u32_e32 v25, vcc_lo, v1, v11, vcc_lo
	v_lshlrev_b64_e32 v[26:27], 4, v[12:13]
	ds_load_b128 v[10:13], v31 offset:16896
	ds_load_b128 v[14:17], v31 offset:19008
	v_lshlrev_b64_e32 v[28:29], 4, v[18:19]
	ds_load_b128 v[18:21], v31 offset:21120
	v_mov_b32_e32 v31, v51
	v_add_co_u32 v26, vcc_lo, v0, v26
	s_wait_alu 0xfffd
	v_add_co_ci_u32_e32 v27, vcc_lo, v1, v27, vcc_lo
	s_delay_alu instid0(VALU_DEP_3) | instskip(SKIP_3) | instid1(VALU_DEP_3)
	v_lshlrev_b64_e32 v[30:31], 4, v[30:31]
	v_add_co_u32 v28, vcc_lo, v0, v28
	s_wait_alu 0xfffd
	v_add_co_ci_u32_e32 v29, vcc_lo, v1, v29, vcc_lo
	v_add_co_u32 v30, vcc_lo, v0, v30
	s_wait_alu 0xfffd
	v_add_co_ci_u32_e32 v31, vcc_lo, v1, v31, vcc_lo
	v_cmp_eq_u32_e32 vcc_lo, 0x83, v50
	s_wait_dscnt 0x4
	global_store_b128 v[22:23], v[2:5], off
	s_wait_dscnt 0x3
	global_store_b128 v[24:25], v[6:9], off
	;; [unrolled: 2-line block ×5, first 2 shown]
	s_and_b32 exec_lo, exec_lo, vcc_lo
	s_cbranch_execz .LBB0_30
; %bb.29:
	ds_load_b128 v[2:5], v51 offset:23232
	s_wait_dscnt 0x0
	global_store_b128 v[0:1], v[2:5], off offset:23232
.LBB0_30:
	s_nop 0
	s_sendmsg sendmsg(MSG_DEALLOC_VGPRS)
	s_endpgm
	.section	.rodata,"a",@progbits
	.p2align	6, 0x0
	.amdhsa_kernel fft_rtc_back_len1452_factors_11_3_11_4_wgs_132_tpt_132_halfLds_dp_op_CI_CI_unitstride_sbrr_R2C_dirReg
		.amdhsa_group_segment_fixed_size 0
		.amdhsa_private_segment_fixed_size 0
		.amdhsa_kernarg_size 104
		.amdhsa_user_sgpr_count 2
		.amdhsa_user_sgpr_dispatch_ptr 0
		.amdhsa_user_sgpr_queue_ptr 0
		.amdhsa_user_sgpr_kernarg_segment_ptr 1
		.amdhsa_user_sgpr_dispatch_id 0
		.amdhsa_user_sgpr_private_segment_size 0
		.amdhsa_wavefront_size32 1
		.amdhsa_uses_dynamic_stack 0
		.amdhsa_enable_private_segment 0
		.amdhsa_system_sgpr_workgroup_id_x 1
		.amdhsa_system_sgpr_workgroup_id_y 0
		.amdhsa_system_sgpr_workgroup_id_z 0
		.amdhsa_system_sgpr_workgroup_info 0
		.amdhsa_system_vgpr_workitem_id 0
		.amdhsa_next_free_vgpr 214
		.amdhsa_next_free_sgpr 39
		.amdhsa_reserve_vcc 1
		.amdhsa_float_round_mode_32 0
		.amdhsa_float_round_mode_16_64 0
		.amdhsa_float_denorm_mode_32 3
		.amdhsa_float_denorm_mode_16_64 3
		.amdhsa_fp16_overflow 0
		.amdhsa_workgroup_processor_mode 1
		.amdhsa_memory_ordered 1
		.amdhsa_forward_progress 0
		.amdhsa_round_robin_scheduling 0
		.amdhsa_exception_fp_ieee_invalid_op 0
		.amdhsa_exception_fp_denorm_src 0
		.amdhsa_exception_fp_ieee_div_zero 0
		.amdhsa_exception_fp_ieee_overflow 0
		.amdhsa_exception_fp_ieee_underflow 0
		.amdhsa_exception_fp_ieee_inexact 0
		.amdhsa_exception_int_div_zero 0
	.end_amdhsa_kernel
	.text
.Lfunc_end0:
	.size	fft_rtc_back_len1452_factors_11_3_11_4_wgs_132_tpt_132_halfLds_dp_op_CI_CI_unitstride_sbrr_R2C_dirReg, .Lfunc_end0-fft_rtc_back_len1452_factors_11_3_11_4_wgs_132_tpt_132_halfLds_dp_op_CI_CI_unitstride_sbrr_R2C_dirReg
                                        ; -- End function
	.section	.AMDGPU.csdata,"",@progbits
; Kernel info:
; codeLenInByte = 11284
; NumSgprs: 41
; NumVgprs: 214
; ScratchSize: 0
; MemoryBound: 0
; FloatMode: 240
; IeeeMode: 1
; LDSByteSize: 0 bytes/workgroup (compile time only)
; SGPRBlocks: 5
; VGPRBlocks: 26
; NumSGPRsForWavesPerEU: 41
; NumVGPRsForWavesPerEU: 214
; Occupancy: 7
; WaveLimiterHint : 1
; COMPUTE_PGM_RSRC2:SCRATCH_EN: 0
; COMPUTE_PGM_RSRC2:USER_SGPR: 2
; COMPUTE_PGM_RSRC2:TRAP_HANDLER: 0
; COMPUTE_PGM_RSRC2:TGID_X_EN: 1
; COMPUTE_PGM_RSRC2:TGID_Y_EN: 0
; COMPUTE_PGM_RSRC2:TGID_Z_EN: 0
; COMPUTE_PGM_RSRC2:TIDIG_COMP_CNT: 0
	.text
	.p2alignl 7, 3214868480
	.fill 96, 4, 3214868480
	.type	__hip_cuid_9e19130f5bd911cf,@object ; @__hip_cuid_9e19130f5bd911cf
	.section	.bss,"aw",@nobits
	.globl	__hip_cuid_9e19130f5bd911cf
__hip_cuid_9e19130f5bd911cf:
	.byte	0                               ; 0x0
	.size	__hip_cuid_9e19130f5bd911cf, 1

	.ident	"AMD clang version 19.0.0git (https://github.com/RadeonOpenCompute/llvm-project roc-6.4.0 25133 c7fe45cf4b819c5991fe208aaa96edf142730f1d)"
	.section	".note.GNU-stack","",@progbits
	.addrsig
	.addrsig_sym __hip_cuid_9e19130f5bd911cf
	.amdgpu_metadata
---
amdhsa.kernels:
  - .args:
      - .actual_access:  read_only
        .address_space:  global
        .offset:         0
        .size:           8
        .value_kind:     global_buffer
      - .offset:         8
        .size:           8
        .value_kind:     by_value
      - .actual_access:  read_only
        .address_space:  global
        .offset:         16
        .size:           8
        .value_kind:     global_buffer
      - .actual_access:  read_only
        .address_space:  global
        .offset:         24
        .size:           8
        .value_kind:     global_buffer
      - .actual_access:  read_only
        .address_space:  global
        .offset:         32
        .size:           8
        .value_kind:     global_buffer
      - .offset:         40
        .size:           8
        .value_kind:     by_value
      - .actual_access:  read_only
        .address_space:  global
        .offset:         48
        .size:           8
        .value_kind:     global_buffer
      - .actual_access:  read_only
        .address_space:  global
        .offset:         56
        .size:           8
        .value_kind:     global_buffer
      - .offset:         64
        .size:           4
        .value_kind:     by_value
      - .actual_access:  read_only
        .address_space:  global
        .offset:         72
        .size:           8
        .value_kind:     global_buffer
      - .actual_access:  read_only
        .address_space:  global
        .offset:         80
        .size:           8
        .value_kind:     global_buffer
      - .actual_access:  read_only
        .address_space:  global
        .offset:         88
        .size:           8
        .value_kind:     global_buffer
      - .actual_access:  write_only
        .address_space:  global
        .offset:         96
        .size:           8
        .value_kind:     global_buffer
    .group_segment_fixed_size: 0
    .kernarg_segment_align: 8
    .kernarg_segment_size: 104
    .language:       OpenCL C
    .language_version:
      - 2
      - 0
    .max_flat_workgroup_size: 132
    .name:           fft_rtc_back_len1452_factors_11_3_11_4_wgs_132_tpt_132_halfLds_dp_op_CI_CI_unitstride_sbrr_R2C_dirReg
    .private_segment_fixed_size: 0
    .sgpr_count:     41
    .sgpr_spill_count: 0
    .symbol:         fft_rtc_back_len1452_factors_11_3_11_4_wgs_132_tpt_132_halfLds_dp_op_CI_CI_unitstride_sbrr_R2C_dirReg.kd
    .uniform_work_group_size: 1
    .uses_dynamic_stack: false
    .vgpr_count:     214
    .vgpr_spill_count: 0
    .wavefront_size: 32
    .workgroup_processor_mode: 1
amdhsa.target:   amdgcn-amd-amdhsa--gfx1201
amdhsa.version:
  - 1
  - 2
...

	.end_amdgpu_metadata
